;; amdgpu-corpus repo=ROCm/rocFFT kind=compiled arch=gfx1201 opt=O3
	.text
	.amdgcn_target "amdgcn-amd-amdhsa--gfx1201"
	.amdhsa_code_object_version 6
	.protected	fft_rtc_back_len2700_factors_3_10_10_3_3_wgs_90_tpt_90_halfLds_half_op_CI_CI_unitstride_sbrr_dirReg ; -- Begin function fft_rtc_back_len2700_factors_3_10_10_3_3_wgs_90_tpt_90_halfLds_half_op_CI_CI_unitstride_sbrr_dirReg
	.globl	fft_rtc_back_len2700_factors_3_10_10_3_3_wgs_90_tpt_90_halfLds_half_op_CI_CI_unitstride_sbrr_dirReg
	.p2align	8
	.type	fft_rtc_back_len2700_factors_3_10_10_3_3_wgs_90_tpt_90_halfLds_half_op_CI_CI_unitstride_sbrr_dirReg,@function
fft_rtc_back_len2700_factors_3_10_10_3_3_wgs_90_tpt_90_halfLds_half_op_CI_CI_unitstride_sbrr_dirReg: ; @fft_rtc_back_len2700_factors_3_10_10_3_3_wgs_90_tpt_90_halfLds_half_op_CI_CI_unitstride_sbrr_dirReg
; %bb.0:
	s_clause 0x2
	s_load_b128 s[8:11], s[0:1], 0x0
	s_load_b128 s[4:7], s[0:1], 0x58
	;; [unrolled: 1-line block ×3, first 2 shown]
	v_mul_u32_u24_e32 v1, 0x2d9, v0
	v_mov_b32_e32 v7, 0
	v_mov_b32_e32 v5, 0
	;; [unrolled: 1-line block ×3, first 2 shown]
	s_delay_alu instid0(VALU_DEP_4) | instskip(NEXT) | instid1(VALU_DEP_1)
	v_lshrrev_b32_e32 v1, 16, v1
	v_dual_mov_b32 v10, v7 :: v_dual_add_nc_u32 v9, ttmp9, v1
	s_wait_kmcnt 0x0
	v_cmp_lt_u64_e64 s2, s[10:11], 2
	s_delay_alu instid0(VALU_DEP_1)
	s_and_b32 vcc_lo, exec_lo, s2
	s_cbranch_vccnz .LBB0_8
; %bb.1:
	s_load_b64 s[2:3], s[0:1], 0x10
	v_mov_b32_e32 v5, 0
	v_mov_b32_e32 v6, 0
	s_delay_alu instid0(VALU_DEP_2)
	v_mov_b32_e32 v1, v5
	s_add_nc_u64 s[16:17], s[14:15], 8
	s_add_nc_u64 s[18:19], s[12:13], 8
	s_mov_b64 s[20:21], 1
	v_mov_b32_e32 v2, v6
	s_wait_kmcnt 0x0
	s_add_nc_u64 s[22:23], s[2:3], 8
	s_mov_b32 s3, 0
.LBB0_2:                                ; =>This Inner Loop Header: Depth=1
	s_load_b64 s[24:25], s[22:23], 0x0
                                        ; implicit-def: $vgpr3_vgpr4
	s_mov_b32 s2, exec_lo
	s_wait_kmcnt 0x0
	v_or_b32_e32 v8, s25, v10
	s_delay_alu instid0(VALU_DEP_1)
	v_cmpx_ne_u64_e32 0, v[7:8]
	s_wait_alu 0xfffe
	s_xor_b32 s26, exec_lo, s2
	s_cbranch_execz .LBB0_4
; %bb.3:                                ;   in Loop: Header=BB0_2 Depth=1
	s_cvt_f32_u32 s2, s24
	s_cvt_f32_u32 s27, s25
	s_sub_nc_u64 s[30:31], 0, s[24:25]
	s_wait_alu 0xfffe
	s_delay_alu instid0(SALU_CYCLE_1) | instskip(SKIP_1) | instid1(SALU_CYCLE_2)
	s_fmamk_f32 s2, s27, 0x4f800000, s2
	s_wait_alu 0xfffe
	v_s_rcp_f32 s2, s2
	s_delay_alu instid0(TRANS32_DEP_1) | instskip(SKIP_1) | instid1(SALU_CYCLE_2)
	s_mul_f32 s2, s2, 0x5f7ffffc
	s_wait_alu 0xfffe
	s_mul_f32 s27, s2, 0x2f800000
	s_wait_alu 0xfffe
	s_delay_alu instid0(SALU_CYCLE_2) | instskip(SKIP_1) | instid1(SALU_CYCLE_2)
	s_trunc_f32 s27, s27
	s_wait_alu 0xfffe
	s_fmamk_f32 s2, s27, 0xcf800000, s2
	s_cvt_u32_f32 s29, s27
	s_wait_alu 0xfffe
	s_delay_alu instid0(SALU_CYCLE_1) | instskip(SKIP_1) | instid1(SALU_CYCLE_2)
	s_cvt_u32_f32 s28, s2
	s_wait_alu 0xfffe
	s_mul_u64 s[34:35], s[30:31], s[28:29]
	s_wait_alu 0xfffe
	s_mul_hi_u32 s37, s28, s35
	s_mul_i32 s36, s28, s35
	s_mul_hi_u32 s2, s28, s34
	s_mul_i32 s33, s29, s34
	s_wait_alu 0xfffe
	s_add_nc_u64 s[36:37], s[2:3], s[36:37]
	s_mul_hi_u32 s27, s29, s34
	s_mul_hi_u32 s38, s29, s35
	s_add_co_u32 s2, s36, s33
	s_wait_alu 0xfffe
	s_add_co_ci_u32 s2, s37, s27
	s_mul_i32 s34, s29, s35
	s_add_co_ci_u32 s35, s38, 0
	s_wait_alu 0xfffe
	s_add_nc_u64 s[34:35], s[2:3], s[34:35]
	s_wait_alu 0xfffe
	v_add_co_u32 v3, s2, s28, s34
	s_delay_alu instid0(VALU_DEP_1) | instskip(SKIP_1) | instid1(VALU_DEP_1)
	s_cmp_lg_u32 s2, 0
	s_add_co_ci_u32 s29, s29, s35
	v_readfirstlane_b32 s28, v3
	s_wait_alu 0xfffe
	s_delay_alu instid0(VALU_DEP_1)
	s_mul_u64 s[30:31], s[30:31], s[28:29]
	s_wait_alu 0xfffe
	s_mul_hi_u32 s35, s28, s31
	s_mul_i32 s34, s28, s31
	s_mul_hi_u32 s2, s28, s30
	s_mul_i32 s33, s29, s30
	s_wait_alu 0xfffe
	s_add_nc_u64 s[34:35], s[2:3], s[34:35]
	s_mul_hi_u32 s27, s29, s30
	s_mul_hi_u32 s28, s29, s31
	s_wait_alu 0xfffe
	s_add_co_u32 s2, s34, s33
	s_add_co_ci_u32 s2, s35, s27
	s_mul_i32 s30, s29, s31
	s_add_co_ci_u32 s31, s28, 0
	s_wait_alu 0xfffe
	s_add_nc_u64 s[30:31], s[2:3], s[30:31]
	s_wait_alu 0xfffe
	v_add_co_u32 v8, s2, v3, s30
	s_delay_alu instid0(VALU_DEP_1) | instskip(SKIP_1) | instid1(VALU_DEP_1)
	s_cmp_lg_u32 s2, 0
	s_add_co_ci_u32 s2, s29, s31
	v_mul_hi_u32 v15, v9, v8
	s_wait_alu 0xfffe
	v_mad_co_u64_u32 v[3:4], null, v9, s2, 0
	v_mad_co_u64_u32 v[11:12], null, v10, v8, 0
	;; [unrolled: 1-line block ×3, first 2 shown]
	s_delay_alu instid0(VALU_DEP_3) | instskip(SKIP_1) | instid1(VALU_DEP_4)
	v_add_co_u32 v3, vcc_lo, v15, v3
	s_wait_alu 0xfffd
	v_add_co_ci_u32_e32 v4, vcc_lo, 0, v4, vcc_lo
	s_delay_alu instid0(VALU_DEP_2) | instskip(SKIP_1) | instid1(VALU_DEP_2)
	v_add_co_u32 v3, vcc_lo, v3, v11
	s_wait_alu 0xfffd
	v_add_co_ci_u32_e32 v3, vcc_lo, v4, v12, vcc_lo
	s_wait_alu 0xfffd
	v_add_co_ci_u32_e32 v4, vcc_lo, 0, v14, vcc_lo
	s_delay_alu instid0(VALU_DEP_2) | instskip(SKIP_1) | instid1(VALU_DEP_2)
	v_add_co_u32 v8, vcc_lo, v3, v13
	s_wait_alu 0xfffd
	v_add_co_ci_u32_e32 v11, vcc_lo, 0, v4, vcc_lo
	s_delay_alu instid0(VALU_DEP_2) | instskip(SKIP_1) | instid1(VALU_DEP_3)
	v_mul_lo_u32 v12, s25, v8
	v_mad_co_u64_u32 v[3:4], null, s24, v8, 0
	v_mul_lo_u32 v13, s24, v11
	s_delay_alu instid0(VALU_DEP_2) | instskip(NEXT) | instid1(VALU_DEP_2)
	v_sub_co_u32 v3, vcc_lo, v9, v3
	v_add3_u32 v4, v4, v13, v12
	s_delay_alu instid0(VALU_DEP_1) | instskip(SKIP_1) | instid1(VALU_DEP_1)
	v_sub_nc_u32_e32 v12, v10, v4
	s_wait_alu 0xfffd
	v_subrev_co_ci_u32_e64 v12, s2, s25, v12, vcc_lo
	v_add_co_u32 v13, s2, v8, 2
	s_wait_alu 0xf1ff
	v_add_co_ci_u32_e64 v14, s2, 0, v11, s2
	v_sub_co_u32 v15, s2, v3, s24
	v_sub_co_ci_u32_e32 v4, vcc_lo, v10, v4, vcc_lo
	s_wait_alu 0xf1ff
	v_subrev_co_ci_u32_e64 v12, s2, 0, v12, s2
	s_delay_alu instid0(VALU_DEP_3) | instskip(NEXT) | instid1(VALU_DEP_3)
	v_cmp_le_u32_e32 vcc_lo, s24, v15
	v_cmp_eq_u32_e64 s2, s25, v4
	s_wait_alu 0xfffd
	v_cndmask_b32_e64 v15, 0, -1, vcc_lo
	v_cmp_le_u32_e32 vcc_lo, s25, v12
	s_wait_alu 0xfffd
	v_cndmask_b32_e64 v16, 0, -1, vcc_lo
	v_cmp_le_u32_e32 vcc_lo, s24, v3
	;; [unrolled: 3-line block ×3, first 2 shown]
	s_wait_alu 0xfffd
	v_cndmask_b32_e64 v17, 0, -1, vcc_lo
	v_cmp_eq_u32_e32 vcc_lo, s25, v12
	s_wait_alu 0xf1ff
	s_delay_alu instid0(VALU_DEP_2)
	v_cndmask_b32_e64 v3, v17, v3, s2
	s_wait_alu 0xfffd
	v_cndmask_b32_e32 v12, v16, v15, vcc_lo
	v_add_co_u32 v15, vcc_lo, v8, 1
	s_wait_alu 0xfffd
	v_add_co_ci_u32_e32 v16, vcc_lo, 0, v11, vcc_lo
	s_delay_alu instid0(VALU_DEP_3) | instskip(SKIP_1) | instid1(VALU_DEP_2)
	v_cmp_ne_u32_e32 vcc_lo, 0, v12
	s_wait_alu 0xfffd
	v_cndmask_b32_e32 v4, v16, v14, vcc_lo
	v_cndmask_b32_e32 v12, v15, v13, vcc_lo
	v_cmp_ne_u32_e32 vcc_lo, 0, v3
	s_wait_alu 0xfffd
	s_delay_alu instid0(VALU_DEP_3) | instskip(NEXT) | instid1(VALU_DEP_3)
	v_cndmask_b32_e32 v4, v11, v4, vcc_lo
	v_cndmask_b32_e32 v3, v8, v12, vcc_lo
.LBB0_4:                                ;   in Loop: Header=BB0_2 Depth=1
	s_wait_alu 0xfffe
	s_and_not1_saveexec_b32 s2, s26
	s_cbranch_execz .LBB0_6
; %bb.5:                                ;   in Loop: Header=BB0_2 Depth=1
	v_cvt_f32_u32_e32 v3, s24
	s_sub_co_i32 s26, 0, s24
	s_delay_alu instid0(VALU_DEP_1) | instskip(NEXT) | instid1(TRANS32_DEP_1)
	v_rcp_iflag_f32_e32 v3, v3
	v_mul_f32_e32 v3, 0x4f7ffffe, v3
	s_delay_alu instid0(VALU_DEP_1) | instskip(SKIP_1) | instid1(VALU_DEP_1)
	v_cvt_u32_f32_e32 v3, v3
	s_wait_alu 0xfffe
	v_mul_lo_u32 v4, s26, v3
	s_delay_alu instid0(VALU_DEP_1) | instskip(NEXT) | instid1(VALU_DEP_1)
	v_mul_hi_u32 v4, v3, v4
	v_add_nc_u32_e32 v3, v3, v4
	s_delay_alu instid0(VALU_DEP_1) | instskip(NEXT) | instid1(VALU_DEP_1)
	v_mul_hi_u32 v3, v9, v3
	v_mul_lo_u32 v4, v3, s24
	v_add_nc_u32_e32 v8, 1, v3
	s_delay_alu instid0(VALU_DEP_2) | instskip(NEXT) | instid1(VALU_DEP_1)
	v_sub_nc_u32_e32 v4, v9, v4
	v_subrev_nc_u32_e32 v11, s24, v4
	v_cmp_le_u32_e32 vcc_lo, s24, v4
	s_wait_alu 0xfffd
	s_delay_alu instid0(VALU_DEP_2) | instskip(NEXT) | instid1(VALU_DEP_1)
	v_dual_cndmask_b32 v4, v4, v11 :: v_dual_cndmask_b32 v3, v3, v8
	v_cmp_le_u32_e32 vcc_lo, s24, v4
	s_delay_alu instid0(VALU_DEP_2) | instskip(SKIP_2) | instid1(VALU_DEP_2)
	v_add_nc_u32_e32 v8, 1, v3
	v_mov_b32_e32 v4, v7
	s_wait_alu 0xfffd
	v_cndmask_b32_e32 v3, v3, v8, vcc_lo
.LBB0_6:                                ;   in Loop: Header=BB0_2 Depth=1
	s_wait_alu 0xfffe
	s_or_b32 exec_lo, exec_lo, s2
	v_mul_lo_u32 v8, v4, s24
	s_delay_alu instid0(VALU_DEP_2)
	v_mul_lo_u32 v13, v3, s25
	s_load_b64 s[26:27], s[18:19], 0x0
	v_mad_co_u64_u32 v[11:12], null, v3, s24, 0
	s_load_b64 s[24:25], s[16:17], 0x0
	s_add_nc_u64 s[20:21], s[20:21], 1
	s_add_nc_u64 s[16:17], s[16:17], 8
	s_wait_alu 0xfffe
	v_cmp_ge_u64_e64 s2, s[20:21], s[10:11]
	s_add_nc_u64 s[18:19], s[18:19], 8
	s_add_nc_u64 s[22:23], s[22:23], 8
	v_add3_u32 v8, v12, v13, v8
	v_sub_co_u32 v9, vcc_lo, v9, v11
	s_wait_alu 0xfffd
	s_delay_alu instid0(VALU_DEP_2) | instskip(SKIP_2) | instid1(VALU_DEP_1)
	v_sub_co_ci_u32_e32 v8, vcc_lo, v10, v8, vcc_lo
	s_and_b32 vcc_lo, exec_lo, s2
	s_wait_kmcnt 0x0
	v_mul_lo_u32 v10, s26, v8
	v_mul_lo_u32 v11, s27, v9
	v_mad_co_u64_u32 v[5:6], null, s26, v9, v[5:6]
	v_mul_lo_u32 v8, s24, v8
	v_mul_lo_u32 v12, s25, v9
	v_mad_co_u64_u32 v[1:2], null, s24, v9, v[1:2]
	s_delay_alu instid0(VALU_DEP_4) | instskip(NEXT) | instid1(VALU_DEP_2)
	v_add3_u32 v6, v11, v6, v10
	v_add3_u32 v2, v12, v2, v8
	s_wait_alu 0xfffe
	s_cbranch_vccnz .LBB0_9
; %bb.7:                                ;   in Loop: Header=BB0_2 Depth=1
	v_dual_mov_b32 v10, v4 :: v_dual_mov_b32 v9, v3
	s_branch .LBB0_2
.LBB0_8:
	v_dual_mov_b32 v1, v5 :: v_dual_mov_b32 v2, v6
	v_dual_mov_b32 v3, v9 :: v_dual_mov_b32 v4, v10
.LBB0_9:
	s_load_b64 s[0:1], s[0:1], 0x28
	v_mul_hi_u32 v68, 0x2d82d83, v0
	s_lshl_b64 s[10:11], s[10:11], 3
                                        ; implicit-def: $vgpr15
	s_wait_kmcnt 0x0
	v_cmp_gt_u64_e32 vcc_lo, s[0:1], v[3:4]
	v_cmp_le_u64_e64 s0, s[0:1], v[3:4]
	s_delay_alu instid0(VALU_DEP_1)
	s_and_saveexec_b32 s1, s0
	s_wait_alu 0xfffe
	s_xor_b32 s0, exec_lo, s1
; %bb.10:
	v_mul_u32_u24_e32 v5, 0x5a, v68
                                        ; implicit-def: $vgpr68
	s_delay_alu instid0(VALU_DEP_1)
	v_sub_nc_u32_e32 v15, v0, v5
                                        ; implicit-def: $vgpr0
                                        ; implicit-def: $vgpr5_vgpr6
; %bb.11:
	s_wait_alu 0xfffe
	s_or_saveexec_b32 s1, s0
	s_add_nc_u64 s[2:3], s[14:15], s[10:11]
                                        ; implicit-def: $vgpr32
                                        ; implicit-def: $vgpr29
                                        ; implicit-def: $vgpr33
                                        ; implicit-def: $vgpr28
                                        ; implicit-def: $vgpr7
                                        ; implicit-def: $vgpr23
                                        ; implicit-def: $vgpr36
                                        ; implicit-def: $vgpr31
                                        ; implicit-def: $vgpr37
                                        ; implicit-def: $vgpr30
                                        ; implicit-def: $vgpr9
                                        ; implicit-def: $vgpr19
                                        ; implicit-def: $vgpr41
                                        ; implicit-def: $vgpr35
                                        ; implicit-def: $vgpr43
                                        ; implicit-def: $vgpr34
                                        ; implicit-def: $vgpr10
                                        ; implicit-def: $vgpr27
                                        ; implicit-def: $vgpr46
                                        ; implicit-def: $vgpr39
                                        ; implicit-def: $vgpr47
                                        ; implicit-def: $vgpr38
                                        ; implicit-def: $vgpr14
                                        ; implicit-def: $vgpr26
                                        ; implicit-def: $vgpr50
                                        ; implicit-def: $vgpr42
                                        ; implicit-def: $vgpr53
                                        ; implicit-def: $vgpr40
                                        ; implicit-def: $vgpr16
                                        ; implicit-def: $vgpr25
                                        ; implicit-def: $vgpr56
                                        ; implicit-def: $vgpr45
                                        ; implicit-def: $vgpr57
                                        ; implicit-def: $vgpr44
                                        ; implicit-def: $vgpr13
                                        ; implicit-def: $vgpr24
                                        ; implicit-def: $vgpr60
                                        ; implicit-def: $vgpr49
                                        ; implicit-def: $vgpr61
                                        ; implicit-def: $vgpr48
                                        ; implicit-def: $vgpr17
                                        ; implicit-def: $vgpr22
                                        ; implicit-def: $vgpr62
                                        ; implicit-def: $vgpr52
                                        ; implicit-def: $vgpr63
                                        ; implicit-def: $vgpr51
                                        ; implicit-def: $vgpr18
                                        ; implicit-def: $vgpr12
                                        ; implicit-def: $vgpr64
                                        ; implicit-def: $vgpr55
                                        ; implicit-def: $vgpr65
                                        ; implicit-def: $vgpr54
                                        ; implicit-def: $vgpr20
                                        ; implicit-def: $vgpr11
                                        ; implicit-def: $vgpr66
                                        ; implicit-def: $vgpr59
                                        ; implicit-def: $vgpr67
                                        ; implicit-def: $vgpr58
                                        ; implicit-def: $vgpr21
                                        ; implicit-def: $vgpr8
	s_wait_alu 0xfffe
	s_xor_b32 exec_lo, exec_lo, s1
	s_cbranch_execz .LBB0_13
; %bb.12:
	s_add_nc_u64 s[10:11], s[12:13], s[10:11]
	v_lshlrev_b64_e32 v[5:6], 2, v[5:6]
	s_load_b64 s[10:11], s[10:11], 0x0
	s_wait_kmcnt 0x0
	v_mul_lo_u32 v9, s11, v3
	v_mul_lo_u32 v10, s10, v4
	v_mad_co_u64_u32 v[7:8], null, s10, v3, 0
	s_delay_alu instid0(VALU_DEP_1) | instskip(SKIP_1) | instid1(VALU_DEP_2)
	v_add3_u32 v8, v8, v10, v9
	v_mul_u32_u24_e32 v9, 0x5a, v68
	v_lshlrev_b64_e32 v[7:8], 2, v[7:8]
	s_delay_alu instid0(VALU_DEP_2) | instskip(NEXT) | instid1(VALU_DEP_2)
	v_sub_nc_u32_e32 v15, v0, v9
	v_add_co_u32 v0, s0, s4, v7
	s_wait_alu 0xf1ff
	s_delay_alu instid0(VALU_DEP_3) | instskip(NEXT) | instid1(VALU_DEP_3)
	v_add_co_ci_u32_e64 v7, s0, s5, v8, s0
	v_lshlrev_b32_e32 v8, 2, v15
	s_delay_alu instid0(VALU_DEP_3) | instskip(SKIP_1) | instid1(VALU_DEP_3)
	v_add_co_u32 v0, s0, v0, v5
	s_wait_alu 0xf1ff
	v_add_co_ci_u32_e64 v6, s0, v7, v6, s0
	s_delay_alu instid0(VALU_DEP_2) | instskip(SKIP_1) | instid1(VALU_DEP_2)
	v_add_co_u32 v5, s0, v0, v8
	s_wait_alu 0xf1ff
	v_add_co_ci_u32_e64 v6, s0, 0, v6, s0
	s_clause 0x1d
	global_load_b32 v8, v[5:6], off
	global_load_b32 v58, v[5:6], off offset:3600
	global_load_b32 v59, v[5:6], off offset:7200
	;; [unrolled: 1-line block ×29, first 2 shown]
	s_wait_loadcnt 0x1d
	v_lshrrev_b32_e32 v21, 16, v8
	s_wait_loadcnt 0x1c
	v_lshrrev_b32_e32 v67, 16, v58
	s_wait_loadcnt 0x1b
	v_lshrrev_b32_e32 v66, 16, v59
	s_wait_loadcnt 0x1a
	v_lshrrev_b32_e32 v20, 16, v11
	s_wait_loadcnt 0x19
	v_lshrrev_b32_e32 v65, 16, v54
	s_wait_loadcnt 0x18
	v_lshrrev_b32_e32 v64, 16, v55
	s_wait_loadcnt 0x17
	v_lshrrev_b32_e32 v18, 16, v12
	s_wait_loadcnt 0x16
	v_lshrrev_b32_e32 v63, 16, v51
	s_wait_loadcnt 0x15
	v_lshrrev_b32_e32 v62, 16, v52
	s_wait_loadcnt 0x14
	v_lshrrev_b32_e32 v17, 16, v22
	s_wait_loadcnt 0x13
	v_lshrrev_b32_e32 v61, 16, v48
	s_wait_loadcnt 0x12
	v_lshrrev_b32_e32 v60, 16, v49
	s_wait_loadcnt 0x11
	v_lshrrev_b32_e32 v13, 16, v24
	s_wait_loadcnt 0x10
	v_lshrrev_b32_e32 v57, 16, v44
	s_wait_loadcnt 0xf
	v_lshrrev_b32_e32 v56, 16, v45
	s_wait_loadcnt 0xe
	v_lshrrev_b32_e32 v16, 16, v25
	s_wait_loadcnt 0xd
	v_lshrrev_b32_e32 v53, 16, v40
	s_wait_loadcnt 0xc
	v_lshrrev_b32_e32 v50, 16, v42
	s_wait_loadcnt 0xb
	v_lshrrev_b32_e32 v14, 16, v26
	s_wait_loadcnt 0xa
	v_lshrrev_b32_e32 v47, 16, v38
	s_wait_loadcnt 0x9
	v_lshrrev_b32_e32 v46, 16, v39
	s_wait_loadcnt 0x8
	v_lshrrev_b32_e32 v10, 16, v27
	s_wait_loadcnt 0x7
	v_lshrrev_b32_e32 v43, 16, v34
	s_wait_loadcnt 0x6
	v_lshrrev_b32_e32 v41, 16, v35
	s_wait_loadcnt 0x5
	v_lshrrev_b32_e32 v9, 16, v19
	s_wait_loadcnt 0x4
	v_lshrrev_b32_e32 v37, 16, v30
	s_wait_loadcnt 0x3
	v_lshrrev_b32_e32 v36, 16, v31
	s_wait_loadcnt 0x2
	v_lshrrev_b32_e32 v7, 16, v23
	s_wait_loadcnt 0x1
	v_lshrrev_b32_e32 v33, 16, v28
	s_wait_loadcnt 0x0
	v_lshrrev_b32_e32 v32, 16, v29
.LBB0_13:
	s_or_b32 exec_lo, exec_lo, s1
	v_add_f16_e32 v0, v59, v58
	v_add_f16_e32 v68, v66, v67
	v_add_f16_e32 v5, v58, v8
	v_sub_f16_e32 v6, v67, v66
	v_sub_f16_e32 v58, v58, v59
	v_fmac_f16_e32 v8, -0.5, v0
	v_add_f16_e32 v0, v67, v21
	v_fmac_f16_e32 v21, -0.5, v68
	v_add_f16_e32 v5, v59, v5
	v_add_f16_e32 v67, v54, v11
	v_fmamk_f16 v59, v6, 0xbaee, v8
	v_fmac_f16_e32 v8, 0x3aee, v6
	v_add_f16_e32 v6, v66, v0
	v_add_f16_e32 v0, v55, v54
	v_fmamk_f16 v66, v58, 0x3aee, v21
	v_fmac_f16_e32 v21, 0xbaee, v58
	v_add_f16_e32 v58, v64, v65
	v_sub_f16_e32 v54, v54, v55
	v_fmac_f16_e32 v11, -0.5, v0
	v_sub_f16_e32 v0, v65, v64
	v_add_f16_e32 v65, v65, v20
	v_fmac_f16_e32 v20, -0.5, v58
	v_add_f16_e32 v67, v55, v67
	s_load_b64 s[2:3], s[2:3], 0x0
	v_fmamk_f16 v55, v0, 0xbaee, v11
	v_fmac_f16_e32 v11, 0x3aee, v0
	v_add_f16_e32 v58, v64, v65
	v_add_f16_e32 v0, v52, v51
	v_fmamk_f16 v64, v54, 0x3aee, v20
	v_fmac_f16_e32 v20, 0xbaee, v54
	v_add_f16_e32 v54, v62, v63
	v_add_f16_e32 v65, v51, v12
	v_fmac_f16_e32 v12, -0.5, v0
	v_sub_f16_e32 v0, v63, v62
	v_add_f16_e32 v63, v63, v18
	v_fmac_f16_e32 v18, -0.5, v54
	v_sub_f16_e32 v51, v51, v52
	v_add_f16_e32 v65, v52, v65
	v_fmamk_f16 v52, v0, 0xbaee, v12
	v_fmac_f16_e32 v12, 0x3aee, v0
	v_add_f16_e32 v54, v62, v63
	v_add_f16_e32 v0, v49, v48
	v_fmamk_f16 v62, v51, 0x3aee, v18
	v_fmac_f16_e32 v18, 0xbaee, v51
	v_add_f16_e32 v51, v60, v61
	v_add_f16_e32 v63, v48, v22
	v_fmac_f16_e32 v22, -0.5, v0
	v_sub_f16_e32 v0, v61, v60
	v_add_f16_e32 v61, v61, v17
	v_fmac_f16_e32 v17, -0.5, v51
	v_sub_f16_e32 v48, v48, v49
	v_add_f16_e32 v63, v49, v63
	;; [unrolled: 14-line block ×7, first 2 shown]
	v_fmamk_f16 v31, v0, 0xbaee, v19
	v_fmac_f16_e32 v19, 0x3aee, v0
	v_add_f16_e32 v34, v36, v37
	v_add_f16_e32 v0, v29, v28
	v_fmamk_f16 v36, v30, 0x3aee, v9
	v_fmac_f16_e32 v9, 0xbaee, v30
	v_add_f16_e32 v30, v32, v33
	v_add_f16_e32 v37, v28, v23
	v_fmac_f16_e32 v23, -0.5, v0
	v_sub_f16_e32 v0, v33, v32
	v_add_f16_e32 v33, v33, v7
	v_fmac_f16_e32 v7, -0.5, v30
	v_mad_u32_u24 v30, v15, 6, 0
	ds_store_b16 v30, v5
	ds_store_b16 v30, v59 offset:2
	ds_store_b16 v30, v8 offset:4
	;; [unrolled: 1-line block ×23, first 2 shown]
	v_and_b32_e32 v8, 0xff, v15
	v_lshlrev_b32_e32 v5, 1, v15
	v_add_f16_e32 v37, v29, v37
	v_sub_f16_e32 v28, v28, v29
	v_fmamk_f16 v29, v0, 0xbaee, v23
	v_mul_lo_u16 v12, 0xab, v8
	v_fmac_f16_e32 v23, 0x3aee, v0
	v_add_nc_u32_e32 v0, 0, v5
	ds_store_b16 v30, v43 offset:4320
	ds_store_b16 v30, v31 offset:4322
	;; [unrolled: 1-line block ×6, first 2 shown]
	global_wb scope:SCOPE_SE
	s_wait_dscnt 0x0
	v_lshrrev_b16 v12, 9, v12
	s_wait_kmcnt 0x0
	s_barrier_signal -1
	s_barrier_wait -1
	global_inv scope:SCOPE_SE
	ds_load_u16 v27, v0
	ds_load_u16 v19, v0 offset:180
	ds_load_u16 v25, v0 offset:720
	;; [unrolled: 1-line block ×21, first 2 shown]
	v_mul_lo_u16 v22, v12, 3
	ds_load_u16 v63, v0 offset:3780
	ds_load_u16 v75, v0 offset:3600
	;; [unrolled: 1-line block ×8, first 2 shown]
	global_wb scope:SCOPE_SE
	s_wait_dscnt 0x0
	s_barrier_signal -1
	s_barrier_wait -1
	global_inv scope:SCOPE_SE
	ds_store_b16 v30, v6
	ds_store_b16 v30, v66 offset:2
	ds_store_b16 v30, v21 offset:4
	;; [unrolled: 1-line block ×7, first 2 shown]
	v_sub_nc_u16 v6, v15, v22
	ds_store_b16 v30, v18 offset:1084
	ds_store_b16 v30, v51 offset:1620
	;; [unrolled: 1-line block ×8, first 2 shown]
	v_add_f16_e32 v32, v32, v33
	v_fmamk_f16 v33, v28, 0x3aee, v7
	v_fmac_f16_e32 v7, 0xbaee, v28
	v_and_b32_e32 v13, 0xff, v6
	ds_store_b16 v30, v50 offset:2702
	ds_store_b16 v30, v16 offset:2704
	;; [unrolled: 1-line block ×14, first 2 shown]
	global_wb scope:SCOPE_SE
	s_wait_dscnt 0x0
	s_barrier_signal -1
	v_mul_u32_u24_e32 v6, 9, v13
	s_barrier_wait -1
	global_inv scope:SCOPE_SE
	v_add_nc_u32_e32 v7, 0x5a, v15
	v_add_nc_u32_e32 v9, 0xb4, v15
	v_lshlrev_b32_e32 v17, 2, v6
	s_clause 0x1
	global_load_b128 v[21:24], v17, s[8:9]
	global_load_b128 v[28:31], v17, s[8:9] offset:16
	v_and_b32_e32 v10, 0xff, v7
	global_load_b32 v41, v17, s[8:9] offset:32
	v_and_b32_e32 v12, 0xffff, v12
	v_lshlrev_b32_e32 v13, 1, v13
	v_mul_lo_u16 v8, 0x89, v8
	v_mul_lo_u16 v6, 0xab, v10
	;; [unrolled: 1-line block ×3, first 2 shown]
	v_mul_u32_u24_e32 v12, 60, v12
	s_delay_alu instid0(VALU_DEP_4) | instskip(NEXT) | instid1(VALU_DEP_4)
	v_lshrrev_b16 v8, 12, v8
	v_lshrrev_b16 v16, 9, v6
	s_delay_alu instid0(VALU_DEP_3) | instskip(NEXT) | instid1(VALU_DEP_2)
	v_add3_u32 v12, 0, v12, v13
	v_mul_lo_u16 v6, v16, 3
	v_and_b32_e32 v16, 0xffff, v16
	s_delay_alu instid0(VALU_DEP_2) | instskip(NEXT) | instid1(VALU_DEP_2)
	v_sub_nc_u16 v6, v7, v6
	v_mul_u32_u24_e32 v16, 60, v16
	s_delay_alu instid0(VALU_DEP_2) | instskip(NEXT) | instid1(VALU_DEP_1)
	v_and_b32_e32 v14, 0xff, v6
	v_mul_u32_u24_e32 v6, 9, v14
	v_lshlrev_b32_e32 v14, 1, v14
	s_delay_alu instid0(VALU_DEP_2) | instskip(SKIP_1) | instid1(VALU_DEP_3)
	v_lshlrev_b32_e32 v40, 2, v6
	v_and_b32_e32 v6, 0xffff, v9
	v_add3_u32 v13, 0, v16, v14
	global_load_b128 v[32:35], v40, s[8:9]
	v_mul_u32_u24_e32 v18, 0xaaab, v6
	ds_load_u16 v44, v0 offset:720
	ds_load_u16 v50, v0 offset:1260
	;; [unrolled: 1-line block ×15, first 2 shown]
	v_lshrrev_b32_e32 v17, 17, v18
	ds_load_u16 v64, v0 offset:1620
	ds_load_u16 v84, v0 offset:1440
	;; [unrolled: 1-line block ×8, first 2 shown]
	v_mul_u32_u24_e32 v6, 0x8889, v6
	v_mul_lo_u16 v18, v17, 3
	v_mul_u32_u24_e32 v14, 60, v17
	s_delay_alu instid0(VALU_DEP_3) | instskip(NEXT) | instid1(VALU_DEP_3)
	v_lshrrev_b32_e32 v6, 20, v6
	v_sub_nc_u16 v18, v9, v18
	s_delay_alu instid0(VALU_DEP_1) | instskip(NEXT) | instid1(VALU_DEP_1)
	v_and_b32_e32 v18, 0xffff, v18
	v_mul_u32_u24_e32 v36, 9, v18
	v_lshlrev_b32_e32 v16, 1, v18
	s_delay_alu instid0(VALU_DEP_2)
	v_lshlrev_b32_e32 v90, 2, v36
	s_clause 0x1
	global_load_b128 v[36:39], v40, s[8:9] offset:16
	global_load_b32 v40, v40, s[8:9] offset:32
	v_add3_u32 v14, 0, v14, v16
	s_wait_loadcnt 0x5
	v_lshrrev_b32_e32 v87, 16, v21
	v_lshrrev_b32_e32 v92, 16, v22
	;; [unrolled: 1-line block ×4, first 2 shown]
	s_wait_dscnt 0xd
	v_mul_f16_e32 v91, v48, v87
	v_mul_f16_e32 v87, v49, v87
	;; [unrolled: 1-line block ×3, first 2 shown]
	s_delay_alu instid0(VALU_DEP_3) | instskip(SKIP_1) | instid1(VALU_DEP_4)
	v_fmac_f16_e32 v91, v49, v21
	v_mul_f16_e32 v49, v47, v92
	v_fma_f16 v87, v48, v21, -v87
	s_wait_dscnt 0x7
	v_mul_f16_e32 v92, v64, v93
	v_mul_f16_e32 v21, v59, v93
	v_fmac_f16_e32 v95, v47, v22
	v_mul_f16_e32 v93, v62, v94
	v_mul_f16_e32 v47, v57, v94
	v_fma_f16 v94, v46, v22, -v49
	s_wait_loadcnt 0x4
	v_lshrrev_b32_e32 v22, 16, v28
	v_fmac_f16_e32 v92, v59, v23
	v_fma_f16 v96, v64, v23, -v21
	v_lshrrev_b32_e32 v23, 16, v30
	v_fma_f16 v97, v62, v24, -v47
	v_mul_f16_e32 v98, v58, v22
	v_mul_f16_e32 v22, v55, v22
	global_load_b128 v[46:49], v90, s[8:9]
	v_fmac_f16_e32 v93, v57, v24
	v_lshrrev_b32_e32 v21, 16, v29
	v_lshrrev_b32_e32 v24, 16, v31
	v_fma_f16 v100, v58, v28, -v22
	s_wait_dscnt 0x3
	v_mul_f16_e32 v101, v69, v23
	v_mul_f16_e32 v22, v63, v23
	s_wait_dscnt 0x1
	v_mul_f16_e32 v99, v88, v21
	v_mul_f16_e32 v21, v67, v21
	;; [unrolled: 1-line block ×3, first 2 shown]
	v_fmac_f16_e32 v101, v63, v30
	v_fma_f16 v30, v69, v30, -v22
	v_mul_f16_e32 v22, v53, v24
	v_fmac_f16_e32 v99, v67, v29
	v_fma_f16 v29, v88, v29, -v21
	ds_load_u16 v21, v0 offset:5040
	ds_load_u16 v88, v0 offset:5220
	;; [unrolled: 1-line block ×3, first 2 shown]
	v_fmac_f16_e32 v103, v53, v31
	v_fma_f16 v31, v56, v31, -v22
	s_clause 0x1
	global_load_b128 v[56:59], v90, s[8:9] offset:16
	global_load_b32 v90, v90, s[8:9] offset:32
	s_wait_loadcnt 0x5
	v_lshrrev_b32_e32 v22, 16, v32
	v_lshrrev_b32_e32 v23, 16, v33
	v_fmac_f16_e32 v98, v55, v28
	v_lshrrev_b32_e32 v24, 16, v41
	s_delay_alu instid0(VALU_DEP_4) | instskip(SKIP_2) | instid1(VALU_DEP_3)
	v_mul_f16_e32 v53, v44, v22
	v_mul_f16_e32 v22, v25, v22
	;; [unrolled: 1-line block ×3, first 2 shown]
	v_fmac_f16_e32 v53, v25, v32
	s_delay_alu instid0(VALU_DEP_3) | instskip(SKIP_3) | instid1(VALU_DEP_3)
	v_fma_f16 v55, v44, v32, -v22
	v_mul_f16_e32 v22, v26, v23
	v_lshrrev_b32_e32 v23, 16, v34
	v_fmac_f16_e32 v104, v26, v33
	v_fma_f16 v105, v50, v33, -v22
	s_delay_alu instid0(VALU_DEP_3) | instskip(SKIP_3) | instid1(VALU_DEP_4)
	v_mul_f16_e32 v64, v51, v23
	v_mul_f16_e32 v22, v42, v23
	v_lshrrev_b32_e32 v23, 16, v35
	v_sub_f16_e32 v50, v103, v99
	v_fmac_f16_e32 v64, v42, v34
	s_delay_alu instid0(VALU_DEP_4) | instskip(NEXT) | instid1(VALU_DEP_4)
	v_fma_f16 v62, v51, v34, -v22
	v_mul_f16_e32 v106, v54, v23
	v_mul_f16_e32 v22, v43, v23
	ds_load_u16 v23, v0 offset:4860
	s_wait_loadcnt 0x4
	v_lshrrev_b32_e32 v25, 16, v36
	v_lshrrev_b32_e32 v26, 16, v37
	v_fmac_f16_e32 v106, v43, v35
	v_fma_f16 v107, v54, v35, -v22
	ds_load_u16 v22, v0 offset:2880
	v_add_f16_e32 v51, v95, v103
	v_mul_f16_e32 v108, v60, v26
	s_delay_alu instid0(VALU_DEP_1)
	v_fmac_f16_e32 v108, v52, v37
	s_wait_dscnt 0x1
	v_mul_f16_e32 v32, v23, v24
	v_mul_f16_e32 v24, v68, v24
	s_wait_dscnt 0x0
	v_mul_f16_e32 v67, v22, v25
	s_delay_alu instid0(VALU_DEP_2)
	v_fma_f16 v33, v23, v41, -v24
	v_mul_f16_e32 v23, v45, v25
	v_lshrrev_b32_e32 v24, 16, v38
	v_lshrrev_b32_e32 v25, 16, v39
	v_fmac_f16_e32 v32, v68, v41
	v_fmac_f16_e32 v67, v45, v36
	v_fma_f16 v63, v22, v36, -v23
	v_mul_f16_e32 v22, v52, v26
	v_mul_f16_e32 v23, v65, v24
	;; [unrolled: 1-line block ×4, first 2 shown]
	ds_load_u16 v111, v0
	ds_load_u16 v52, v0 offset:180
	v_fma_f16 v110, v60, v37, -v22
	s_wait_loadcnt 0x3
	v_lshrrev_b32_e32 v22, 16, v40
	v_fma_f16 v66, v66, v38, -v23
	v_mul_f16_e32 v23, v61, v25
	v_fmac_f16_e32 v68, v65, v38
	v_fmac_f16_e32 v109, v61, v39
	v_mul_f16_e32 v69, v21, v22
	v_mul_f16_e32 v22, v77, v22
	v_fma_f16 v80, v80, v39, -v23
	v_add_f16_e32 v39, v27, v95
	global_wb scope:SCOPE_SE
	s_wait_loadcnt_dscnt 0x0
	v_fmac_f16_e32 v69, v77, v40
	v_fma_f16 v65, v21, v40, -v22
	v_sub_f16_e32 v40, v94, v31
	s_barrier_signal -1
	s_barrier_wait -1
	global_inv scope:SCOPE_SE
	v_lshrrev_b32_e32 v23, 16, v46
	v_lshrrev_b32_e32 v24, 16, v47
	v_lshrrev_b32_e32 v25, 16, v48
	s_delay_alu instid0(VALU_DEP_3) | instskip(SKIP_1) | instid1(VALU_DEP_4)
	v_mul_f16_e32 v21, v81, v23
	v_mul_f16_e32 v22, v70, v23
	;; [unrolled: 1-line block ×3, first 2 shown]
	s_delay_alu instid0(VALU_DEP_4)
	v_mul_f16_e32 v26, v83, v25
	v_mul_f16_e32 v45, v84, v24
	v_fmac_f16_e32 v21, v70, v46
	v_fma_f16 v22, v81, v46, -v22
	v_fma_f16 v41, v84, v47, -v23
	v_mul_f16_e32 v23, v72, v25
	v_lshrrev_b32_e32 v24, 16, v49
	v_fmac_f16_e32 v45, v73, v47
	v_fmac_f16_e32 v26, v72, v48
	v_sub_f16_e32 v73, v100, v96
	v_lshrrev_b32_e32 v34, 16, v56
	v_fma_f16 v25, v83, v48, -v23
	v_lshrrev_b32_e32 v23, 16, v57
	v_lshrrev_b32_e32 v35, 16, v59
	v_mul_f16_e32 v43, v82, v24
	v_mul_f16_e32 v28, v89, v34
	;; [unrolled: 1-line block ×6, first 2 shown]
	v_fmac_f16_e32 v28, v76, v56
	v_fma_f16 v23, v89, v56, -v36
	v_mul_f16_e32 v56, v102, v35
	v_mul_f16_e32 v35, v79, v35
	v_fma_f16 v44, v86, v57, -v37
	v_lshrrev_b32_e32 v36, 16, v90
	v_add_f16_e32 v37, v93, v99
	v_fmac_f16_e32 v43, v71, v49
	v_fma_f16 v47, v102, v59, -v35
	v_add_f16_e32 v35, v39, v93
	v_mul_f16_e32 v38, v88, v36
	v_fma_f16 v37, -0.5, v37, v27
	v_mul_f16_e32 v36, v78, v36
	v_fma_f16 v42, v82, v49, -v24
	v_add_f16_e32 v54, v35, v99
	v_sub_f16_e32 v48, v97, v29
	v_fmamk_f16 v39, v40, 0xbb9c, v37
	v_sub_f16_e32 v49, v95, v93
	v_fmac_f16_e32 v27, -0.5, v51
	v_fma_f16 v35, v88, v90, -v36
	v_add_f16_e32 v36, v54, v103
	v_fmac_f16_e32 v37, 0x3b9c, v40
	v_add_f16_e32 v54, v111, v94
	v_fmac_f16_e32 v46, v75, v57
	v_fmac_f16_e32 v56, v79, v59
	;; [unrolled: 1-line block ×3, first 2 shown]
	v_add_f16_e32 v49, v49, v50
	v_fmamk_f16 v59, v48, 0x3b9c, v27
	v_sub_f16_e32 v50, v93, v95
	v_sub_f16_e32 v51, v99, v103
	v_fmac_f16_e32 v37, 0x38b4, v48
	v_add_f16_e32 v57, v97, v29
	v_fmac_f16_e32 v27, 0xbb9c, v48
	v_add_f16_e32 v48, v54, v97
	;; [unrolled: 2-line block ×3, first 2 shown]
	v_fma_f16 v70, -0.5, v57, v111
	v_sub_f16_e32 v51, v95, v103
	v_fmac_f16_e32 v27, 0x38b4, v40
	v_add_f16_e32 v40, v48, v29
	v_add_f16_e32 v48, v94, v31
	v_fmac_f16_e32 v39, 0x34f2, v49
	v_fmac_f16_e32 v37, 0x34f2, v49
	v_fmamk_f16 v71, v51, 0x3b9c, v70
	v_sub_f16_e32 v49, v93, v99
	v_sub_f16_e32 v54, v94, v97
	;; [unrolled: 1-line block ×3, first 2 shown]
	v_fmac_f16_e32 v111, -0.5, v48
	v_add_f16_e32 v40, v40, v31
	v_fmac_f16_e32 v70, 0xbb9c, v51
	v_sub_f16_e32 v29, v29, v31
	v_add_f16_e32 v31, v91, v92
	v_lshrrev_b32_e32 v24, 16, v58
	v_fmac_f16_e32 v59, 0x34f2, v50
	v_fmac_f16_e32 v27, 0x34f2, v50
	;; [unrolled: 1-line block ×3, first 2 shown]
	v_add_f16_e32 v48, v54, v57
	v_fmamk_f16 v72, v49, 0xbb9c, v111
	v_sub_f16_e32 v50, v97, v94
	v_fmac_f16_e32 v70, 0xb8b4, v49
	v_fmac_f16_e32 v111, 0x3b9c, v49
	v_add_f16_e32 v31, v31, v98
	v_add_f16_e32 v49, v98, v101
	v_mul_f16_e32 v34, v85, v24
	v_mul_f16_e32 v24, v74, v24
	v_fmac_f16_e32 v71, 0x34f2, v48
	v_fmac_f16_e32 v72, 0x38b4, v51
	v_add_f16_e32 v29, v50, v29
	v_fmac_f16_e32 v70, 0x34f2, v48
	v_fmac_f16_e32 v111, 0xb8b4, v51
	v_add_f16_e32 v31, v31, v101
	v_fma_f16 v57, -0.5, v49, v91
	v_add_f16_e32 v48, v92, v32
	v_sub_f16_e32 v49, v96, v33
	v_fmac_f16_e32 v34, v74, v58
	v_fma_f16 v24, v85, v58, -v24
	v_fmac_f16_e32 v72, 0x34f2, v29
	v_fmac_f16_e32 v111, 0x34f2, v29
	v_add_f16_e32 v58, v31, v32
	v_sub_f16_e32 v29, v100, v30
	v_fmac_f16_e32 v91, -0.5, v48
	v_fmamk_f16 v31, v49, 0xbb9c, v57
	v_sub_f16_e32 v48, v92, v98
	v_sub_f16_e32 v50, v32, v101
	v_fmac_f16_e32 v57, 0x3b9c, v49
	v_fmamk_f16 v60, v29, 0x3b9c, v91
	v_sub_f16_e32 v51, v98, v92
	v_sub_f16_e32 v54, v101, v32
	v_fmac_f16_e32 v31, 0xb8b4, v29
	v_add_f16_e32 v48, v48, v50
	v_fmac_f16_e32 v57, 0x38b4, v29
	v_fmac_f16_e32 v91, 0xbb9c, v29
	v_add_f16_e32 v29, v100, v30
	v_fmac_f16_e32 v60, 0xb8b4, v49
	v_add_f16_e32 v50, v51, v54
	v_fmac_f16_e32 v31, 0x34f2, v48
	v_fmac_f16_e32 v57, 0x34f2, v48
	;; [unrolled: 1-line block ×3, first 2 shown]
	v_add_f16_e32 v48, v96, v33
	v_fma_f16 v29, -0.5, v29, v87
	v_sub_f16_e32 v32, v92, v32
	v_fmac_f16_e32 v60, 0x34f2, v50
	v_add_f16_e32 v49, v87, v96
	v_sub_f16_e32 v51, v98, v101
	v_fmac_f16_e32 v87, -0.5, v48
	v_fmac_f16_e32 v91, 0x34f2, v50
	v_fmamk_f16 v54, v32, 0x3b9c, v29
	v_sub_f16_e32 v48, v96, v100
	v_sub_f16_e32 v50, v33, v30
	v_fmamk_f16 v61, v51, 0xbb9c, v87
	v_sub_f16_e32 v74, v30, v33
	v_fmac_f16_e32 v87, 0x3b9c, v51
	v_fmac_f16_e32 v54, 0x38b4, v51
	v_add_f16_e32 v48, v48, v50
	v_fmac_f16_e32 v29, 0xbb9c, v32
	v_fmac_f16_e32 v61, 0x38b4, v32
	v_add_f16_e32 v50, v73, v74
	v_fmac_f16_e32 v87, 0xb8b4, v32
	v_fmac_f16_e32 v54, 0x34f2, v48
	;; [unrolled: 1-line block ×3, first 2 shown]
	v_add_f16_e32 v32, v49, v100
	v_fmac_f16_e32 v61, 0x34f2, v50
	v_fmac_f16_e32 v87, 0x34f2, v50
	v_mul_f16_e32 v73, 0xb8b4, v54
	v_fmac_f16_e32 v29, 0x34f2, v48
	v_add_f16_e32 v30, v32, v30
	v_mul_f16_e32 v74, 0xbb9c, v61
	v_mul_f16_e32 v75, 0xbb9c, v87
	v_fmac_f16_e32 v73, 0x3a79, v31
	v_mul_f16_e32 v77, 0xb8b4, v29
	v_mul_f16_e32 v82, 0xba79, v29
	v_fmac_f16_e32 v38, v78, v90
	v_add_f16_e32 v76, v30, v33
	v_fmac_f16_e32 v74, 0x34f2, v60
	v_fmac_f16_e32 v75, 0xb4f2, v91
	v_add_f16_e32 v48, v36, v58
	v_add_f16_e32 v49, v39, v73
	v_fmac_f16_e32 v77, 0xba79, v57
	v_mul_f16_e32 v78, 0x3a79, v54
	v_mul_f16_e32 v79, 0x34f2, v61
	v_fmac_f16_e32 v82, 0x38b4, v57
	v_sub_f16_e32 v57, v36, v58
	v_sub_f16_e32 v58, v39, v73
	v_add_f16_e32 v36, v106, v108
	v_add_f16_e32 v39, v19, v104
	;; [unrolled: 1-line block ×4, first 2 shown]
	v_mul_f16_e32 v81, 0xb4f2, v87
	v_add_f16_e32 v54, v37, v77
	v_fmac_f16_e32 v78, 0x38b4, v31
	v_fmac_f16_e32 v79, 0x3b9c, v60
	v_add_f16_e32 v29, v40, v76
	v_sub_f16_e32 v59, v59, v74
	v_sub_f16_e32 v60, v27, v75
	;; [unrolled: 1-line block ×3, first 2 shown]
	v_fma_f16 v73, -0.5, v36, v19
	v_sub_f16_e32 v74, v105, v80
	v_sub_f16_e32 v27, v40, v76
	v_add_f16_e32 v40, v39, v106
	v_add_f16_e32 v77, v104, v109
	v_fmac_f16_e32 v81, 0x3b9c, v91
	v_add_f16_e32 v30, v71, v78
	v_add_f16_e32 v31, v72, v79
	v_sub_f16_e32 v36, v71, v78
	v_sub_f16_e32 v37, v72, v79
	v_fmamk_f16 v71, v74, 0xbb9c, v73
	v_sub_f16_e32 v72, v107, v110
	v_sub_f16_e32 v75, v104, v106
	;; [unrolled: 1-line block ×3, first 2 shown]
	v_add_f16_e32 v78, v40, v108
	v_fmac_f16_e32 v19, -0.5, v77
	v_fmac_f16_e32 v73, 0x3b9c, v74
	v_add_f16_e32 v79, v52, v105
	v_add_f16_e32 v32, v111, v81
	;; [unrolled: 1-line block ×3, first 2 shown]
	v_sub_f16_e32 v39, v111, v81
	v_fmac_f16_e32 v71, 0xb8b4, v72
	v_add_f16_e32 v75, v75, v76
	v_sub_f16_e32 v40, v70, v82
	v_add_f16_e32 v70, v78, v109
	v_fmamk_f16 v76, v72, 0x3b9c, v19
	v_sub_f16_e32 v77, v106, v104
	v_sub_f16_e32 v78, v108, v109
	v_fmac_f16_e32 v73, 0x38b4, v72
	v_add_f16_e32 v81, v107, v110
	v_fmac_f16_e32 v19, 0xbb9c, v72
	v_add_f16_e32 v72, v79, v107
	v_fmac_f16_e32 v71, 0x34f2, v75
	v_add_f16_e32 v77, v77, v78
	v_fma_f16 v78, -0.5, v81, v52
	v_sub_f16_e32 v79, v104, v109
	v_fmac_f16_e32 v73, 0x34f2, v75
	v_add_f16_e32 v72, v72, v110
	v_add_f16_e32 v75, v105, v80
	v_sub_f16_e32 v82, v105, v107
	v_sub_f16_e32 v83, v80, v110
	v_fmac_f16_e32 v76, 0xb8b4, v74
	v_fmac_f16_e32 v19, 0x38b4, v74
	v_fmamk_f16 v74, v79, 0x3b9c, v78
	v_sub_f16_e32 v81, v106, v108
	v_fmac_f16_e32 v52, -0.5, v75
	v_add_f16_e32 v72, v72, v80
	v_add_f16_e32 v75, v82, v83
	v_fmac_f16_e32 v78, 0xbb9c, v79
	v_sub_f16_e32 v82, v107, v105
	v_sub_f16_e32 v80, v110, v80
	v_add_f16_e32 v83, v53, v64
	v_fmac_f16_e32 v76, 0x34f2, v77
	v_fmac_f16_e32 v19, 0x34f2, v77
	;; [unrolled: 1-line block ×3, first 2 shown]
	v_fmamk_f16 v77, v81, 0xbb9c, v52
	v_fmac_f16_e32 v78, 0xb8b4, v81
	v_add_f16_e32 v80, v82, v80
	v_fmac_f16_e32 v52, 0x3b9c, v81
	v_add_f16_e32 v81, v83, v67
	v_add_f16_e32 v82, v67, v68
	v_fmac_f16_e32 v74, 0x34f2, v75
	v_fmac_f16_e32 v77, 0x38b4, v79
	;; [unrolled: 1-line block ×4, first 2 shown]
	v_add_f16_e32 v75, v81, v68
	v_fma_f16 v79, -0.5, v82, v53
	v_add_f16_e32 v81, v64, v69
	v_sub_f16_e32 v82, v62, v65
	v_fmac_f16_e32 v77, 0x34f2, v80
	v_fmac_f16_e32 v52, 0x34f2, v80
	v_sub_f16_e32 v80, v63, v66
	v_fmac_f16_e32 v53, -0.5, v81
	v_fmamk_f16 v81, v82, 0xbb9c, v79
	v_fmac_f16_e32 v79, 0x3b9c, v82
	v_sub_f16_e32 v83, v64, v67
	v_sub_f16_e32 v84, v69, v68
	v_fmamk_f16 v85, v80, 0x3b9c, v53
	v_fmac_f16_e32 v81, 0xb8b4, v80
	v_fmac_f16_e32 v79, 0x38b4, v80
	;; [unrolled: 1-line block ×3, first 2 shown]
	v_add_f16_e32 v80, v63, v66
	v_sub_f16_e32 v86, v67, v64
	v_sub_f16_e32 v87, v68, v69
	v_add_f16_e32 v83, v83, v84
	v_fmac_f16_e32 v85, 0xb8b4, v82
	v_fmac_f16_e32 v53, 0x38b4, v82
	v_add_f16_e32 v82, v62, v65
	v_fma_f16 v80, -0.5, v80, v55
	v_sub_f16_e32 v64, v64, v69
	v_add_f16_e32 v75, v75, v69
	v_add_f16_e32 v84, v86, v87
	v_fmac_f16_e32 v81, 0x34f2, v83
	v_fmac_f16_e32 v79, 0x34f2, v83
	v_add_f16_e32 v69, v55, v62
	v_sub_f16_e32 v67, v67, v68
	v_fmac_f16_e32 v55, -0.5, v82
	v_fmamk_f16 v68, v64, 0x3b9c, v80
	v_sub_f16_e32 v82, v62, v63
	v_sub_f16_e32 v83, v65, v66
	v_fmac_f16_e32 v85, 0x34f2, v84
	v_fmac_f16_e32 v53, 0x34f2, v84
	v_fmamk_f16 v84, v67, 0xbb9c, v55
	v_sub_f16_e32 v62, v63, v62
	v_sub_f16_e32 v86, v66, v65
	v_fmac_f16_e32 v55, 0x3b9c, v67
	v_fmac_f16_e32 v68, 0x38b4, v67
	v_add_f16_e32 v82, v82, v83
	v_fmac_f16_e32 v80, 0xbb9c, v64
	v_fmac_f16_e32 v84, 0x38b4, v64
	v_add_f16_e32 v62, v62, v86
	v_fmac_f16_e32 v55, 0xb8b4, v64
	v_add_f16_e32 v63, v69, v63
	v_fmac_f16_e32 v68, 0x34f2, v82
	v_fmac_f16_e32 v80, 0xb8b4, v67
	;; [unrolled: 1-line block ×4, first 2 shown]
	v_add_f16_e32 v62, v63, v66
	v_mul_f16_e32 v66, 0xb8b4, v68
	v_fmac_f16_e32 v80, 0x34f2, v82
	v_mul_f16_e32 v67, 0xbb9c, v84
	v_mul_f16_e32 v69, 0xbb9c, v55
	;; [unrolled: 1-line block ×3, first 2 shown]
	v_fmac_f16_e32 v66, 0x3a79, v81
	v_mul_f16_e32 v82, 0xb8b4, v80
	v_mul_f16_e32 v84, 0x34f2, v84
	v_fmac_f16_e32 v69, 0xb4f2, v53
	v_add_f16_e32 v65, v62, v65
	v_add_f16_e32 v86, v71, v66
	v_fmac_f16_e32 v82, 0xba79, v79
	v_sub_f16_e32 v66, v71, v66
	v_add_f16_e32 v71, v43, v46
	v_fmac_f16_e32 v67, 0x34f2, v85
	v_add_f16_e32 v83, v70, v75
	v_add_f16_e32 v88, v19, v69
	v_mul_f16_e32 v89, 0xb4f2, v55
	v_mul_f16_e32 v80, 0xba79, v80
	v_add_f16_e32 v90, v73, v82
	v_fmac_f16_e32 v68, 0x38b4, v81
	v_fmac_f16_e32 v84, 0x3b9c, v85
	v_sub_f16_e32 v70, v70, v75
	v_sub_f16_e32 v19, v19, v69
	;; [unrolled: 1-line block ×3, first 2 shown]
	v_add_f16_e32 v73, v11, v45
	v_fma_f16 v71, -0.5, v71, v11
	v_sub_f16_e32 v75, v41, v47
	v_add_f16_e32 v81, v45, v56
	v_add_f16_e32 v87, v76, v67
	v_fmac_f16_e32 v89, 0x3b9c, v53
	v_fmac_f16_e32 v80, 0x38b4, v79
	v_add_f16_e32 v53, v72, v65
	v_add_f16_e32 v55, v74, v68
	;; [unrolled: 1-line block ×3, first 2 shown]
	v_sub_f16_e32 v67, v76, v67
	v_sub_f16_e32 v65, v72, v65
	v_sub_f16_e32 v68, v74, v68
	v_sub_f16_e32 v72, v77, v84
	v_add_f16_e32 v73, v73, v43
	v_fmamk_f16 v74, v75, 0xbb9c, v71
	v_sub_f16_e32 v76, v42, v44
	v_sub_f16_e32 v77, v45, v43
	;; [unrolled: 1-line block ×3, first 2 shown]
	v_fmac_f16_e32 v11, -0.5, v81
	v_fmac_f16_e32 v71, 0x3b9c, v75
	v_add_f16_e32 v82, v20, v41
	v_add_f16_e32 v73, v73, v46
	v_fmac_f16_e32 v74, 0xb8b4, v76
	v_add_f16_e32 v77, v77, v79
	v_fmamk_f16 v79, v76, 0x3b9c, v11
	v_fmac_f16_e32 v71, 0x38b4, v76
	v_fmac_f16_e32 v11, 0xbb9c, v76
	v_add_f16_e32 v76, v82, v42
	v_add_f16_e32 v64, v78, v80
	v_sub_f16_e32 v78, v78, v80
	v_add_f16_e32 v73, v73, v56
	v_sub_f16_e32 v80, v43, v45
	v_sub_f16_e32 v81, v46, v56
	v_add_f16_e32 v84, v42, v44
	v_sub_f16_e32 v45, v45, v56
	v_add_f16_e32 v56, v76, v44
	v_add_f16_e32 v76, v41, v47
	v_fmac_f16_e32 v74, 0x34f2, v77
	v_add_f16_e32 v80, v80, v81
	v_fma_f16 v81, -0.5, v84, v20
	v_fmac_f16_e32 v71, 0x34f2, v77
	v_sub_f16_e32 v43, v43, v46
	v_sub_f16_e32 v46, v41, v42
	v_sub_f16_e32 v77, v47, v44
	v_fmac_f16_e32 v20, -0.5, v76
	v_sub_f16_e32 v41, v42, v41
	v_sub_f16_e32 v42, v44, v47
	v_add_f16_e32 v44, v21, v26
	v_fmac_f16_e32 v79, 0xb8b4, v75
	v_fmac_f16_e32 v11, 0x38b4, v75
	v_fmamk_f16 v75, v45, 0x3b9c, v81
	v_fmac_f16_e32 v81, 0xbb9c, v45
	v_fmamk_f16 v76, v43, 0xbb9c, v20
	v_add_f16_e32 v41, v41, v42
	v_fmac_f16_e32 v20, 0x3b9c, v43
	v_add_f16_e32 v42, v44, v28
	v_fmac_f16_e32 v75, 0x38b4, v43
	v_fmac_f16_e32 v81, 0xb8b4, v43
	;; [unrolled: 1-line block ×3, first 2 shown]
	v_add_f16_e32 v43, v28, v34
	v_fmac_f16_e32 v20, 0xb8b4, v45
	v_add_f16_e32 v42, v42, v34
	v_add_f16_e32 v44, v26, v38
	v_fmac_f16_e32 v76, 0x34f2, v41
	v_fma_f16 v43, -0.5, v43, v21
	v_sub_f16_e32 v45, v25, v35
	v_fmac_f16_e32 v20, 0x34f2, v41
	v_add_f16_e32 v41, v42, v38
	v_sub_f16_e32 v42, v23, v24
	v_fmac_f16_e32 v21, -0.5, v44
	v_add_f16_e32 v46, v46, v77
	v_fmamk_f16 v44, v45, 0xbb9c, v43
	v_fmac_f16_e32 v43, 0x3b9c, v45
	v_fmac_f16_e32 v79, 0x34f2, v80
	v_fmamk_f16 v77, v42, 0x3b9c, v21
	v_fmac_f16_e32 v21, 0xbb9c, v42
	v_fmac_f16_e32 v11, 0x34f2, v80
	v_add_f16_e32 v56, v56, v47
	v_fmac_f16_e32 v75, 0x34f2, v46
	v_fmac_f16_e32 v81, 0x34f2, v46
	v_sub_f16_e32 v46, v26, v28
	v_sub_f16_e32 v47, v38, v34
	;; [unrolled: 1-line block ×4, first 2 shown]
	v_fmac_f16_e32 v44, 0xb8b4, v42
	v_fmac_f16_e32 v43, 0x38b4, v42
	;; [unrolled: 1-line block ×3, first 2 shown]
	v_add_f16_e32 v42, v23, v24
	v_fmac_f16_e32 v21, 0x38b4, v45
	v_add_f16_e32 v45, v25, v35
	v_add_f16_e32 v46, v46, v47
	;; [unrolled: 1-line block ×3, first 2 shown]
	v_fma_f16 v42, -0.5, v42, v22
	v_sub_f16_e32 v26, v26, v38
	v_add_f16_e32 v38, v22, v25
	v_sub_f16_e32 v28, v28, v34
	v_fmac_f16_e32 v22, -0.5, v45
	v_fmac_f16_e32 v44, 0x34f2, v46
	v_fmac_f16_e32 v43, 0x34f2, v46
	;; [unrolled: 1-line block ×4, first 2 shown]
	v_fmamk_f16 v34, v26, 0x3b9c, v42
	v_sub_f16_e32 v45, v25, v23
	v_sub_f16_e32 v46, v35, v24
	v_fmamk_f16 v47, v28, 0xbb9c, v22
	v_sub_f16_e32 v25, v23, v25
	v_sub_f16_e32 v80, v24, v35
	v_fmac_f16_e32 v22, 0x3b9c, v28
	v_fmac_f16_e32 v42, 0xbb9c, v26
	;; [unrolled: 1-line block ×3, first 2 shown]
	v_add_f16_e32 v45, v45, v46
	v_fmac_f16_e32 v47, 0x38b4, v26
	v_add_f16_e32 v25, v25, v80
	v_fmac_f16_e32 v22, 0xb8b4, v26
	v_fmac_f16_e32 v42, 0xb8b4, v28
	v_add_f16_e32 v23, v38, v23
	v_fmac_f16_e32 v34, 0x34f2, v45
	v_fmac_f16_e32 v47, 0x34f2, v25
	v_fmac_f16_e32 v22, 0x34f2, v25
	v_fmac_f16_e32 v42, 0x34f2, v45
	v_add_f16_e32 v23, v23, v24
	v_mul_f16_e32 v24, 0xb8b4, v34
	v_mul_f16_e32 v25, 0xbb9c, v47
	v_mul_f16_e32 v26, 0xbb9c, v22
	v_mul_f16_e32 v28, 0xb8b4, v42
	v_add_f16_e32 v23, v23, v35
	v_fmac_f16_e32 v24, 0x3a79, v44
	v_fmac_f16_e32 v25, 0x34f2, v77
	v_fmac_f16_e32 v26, 0xb4f2, v21
	v_fmac_f16_e32 v28, 0xba79, v43
	v_add_f16_e32 v35, v73, v41
	v_add_f16_e32 v38, v74, v24
	;; [unrolled: 1-line block ×4, first 2 shown]
	v_mul_f16_e32 v34, 0x3a79, v34
	v_mul_f16_e32 v47, 0x34f2, v47
	;; [unrolled: 1-line block ×4, first 2 shown]
	v_add_f16_e32 v80, v71, v28
	v_sub_f16_e32 v41, v73, v41
	v_sub_f16_e32 v24, v74, v24
	;; [unrolled: 1-line block ×5, first 2 shown]
	ds_store_b16 v12, v48
	ds_store_b16 v12, v49 offset:6
	ds_store_b16 v12, v50 offset:12
	ds_store_b16 v12, v51 offset:18
	ds_store_b16 v12, v54 offset:24
	ds_store_b16 v12, v57 offset:30
	ds_store_b16 v12, v58 offset:36
	ds_store_b16 v12, v59 offset:42
	ds_store_b16 v12, v60 offset:48
	ds_store_b16 v12, v61 offset:54
	ds_store_b16 v13, v83
	ds_store_b16 v13, v86 offset:6
	ds_store_b16 v13, v87 offset:12
	ds_store_b16 v13, v88 offset:18
	ds_store_b16 v13, v90 offset:24
	ds_store_b16 v13, v70 offset:30
	ds_store_b16 v13, v66 offset:36
	ds_store_b16 v13, v67 offset:42
	ds_store_b16 v13, v19 offset:48
	ds_store_b16 v13, v69 offset:54
	;; [unrolled: 10-line block ×3, first 2 shown]
	v_mul_lo_u16 v19, v8, 30
	v_fmac_f16_e32 v34, 0x38b4, v44
	v_fmac_f16_e32 v47, 0x3b9c, v77
	;; [unrolled: 1-line block ×4, first 2 shown]
	v_sub_nc_u16 v19, v15, v19
	v_add_f16_e32 v21, v56, v23
	v_add_f16_e32 v43, v75, v34
	;; [unrolled: 1-line block ×5, first 2 shown]
	v_sub_f16_e32 v23, v56, v23
	v_sub_f16_e32 v28, v75, v34
	;; [unrolled: 1-line block ×5, first 2 shown]
	global_wb scope:SCOPE_SE
	s_wait_dscnt 0x0
	s_barrier_signal -1
	s_barrier_wait -1
	global_inv scope:SCOPE_SE
	ds_load_u16 v26, v0
	ds_load_u16 v18, v0 offset:180
	ds_load_u16 v16, v0 offset:720
	;; [unrolled: 1-line block ×29, first 2 shown]
	global_wb scope:SCOPE_SE
	s_wait_dscnt 0x0
	s_barrier_signal -1
	s_barrier_wait -1
	global_inv scope:SCOPE_SE
	ds_store_b16 v12, v29
	ds_store_b16 v12, v30 offset:6
	ds_store_b16 v12, v31 offset:12
	;; [unrolled: 1-line block ×9, first 2 shown]
	v_and_b32_e32 v12, 0xff, v19
	v_add_f16_e32 v63, v52, v89
	v_sub_f16_e32 v52, v52, v89
	ds_store_b16 v13, v53
	ds_store_b16 v13, v55 offset:6
	ds_store_b16 v13, v62 offset:12
	;; [unrolled: 1-line block ×9, first 2 shown]
	ds_store_b16 v14, v21
	ds_store_b16 v14, v43 offset:6
	ds_store_b16 v14, v44 offset:12
	;; [unrolled: 1-line block ×9, first 2 shown]
	v_mul_u32_u24_e32 v13, 9, v12
	global_wb scope:SCOPE_SE
	s_wait_dscnt 0x0
	s_barrier_signal -1
	s_barrier_wait -1
	global_inv scope:SCOPE_SE
	v_lshlrev_b32_e32 v14, 2, v13
	s_clause 0x1
	global_load_b128 v[19:22], v14, s[8:9] offset:108
	global_load_b128 v[27:30], v14, s[8:9] offset:124
	v_lshrrev_b16 v13, 12, v10
	v_mul_lo_u16 v92, v6, 30
	v_and_b32_e32 v8, 0xffff, v8
	v_lshlrev_b32_e32 v12, 1, v12
	v_mul_u32_u24_e32 v6, 0x258, v6
	v_mul_lo_u16 v10, v13, 30
	v_and_b32_e32 v13, 0xffff, v13
	v_mul_u32_u24_e32 v8, 0x258, v8
	s_delay_alu instid0(VALU_DEP_3) | instskip(NEXT) | instid1(VALU_DEP_3)
	v_sub_nc_u16 v10, v7, v10
	v_mul_u32_u24_e32 v13, 0x258, v13
	s_delay_alu instid0(VALU_DEP_3) | instskip(NEXT) | instid1(VALU_DEP_3)
	v_add3_u32 v8, 0, v8, v12
	v_and_b32_e32 v10, 0xff, v10
	s_delay_alu instid0(VALU_DEP_1) | instskip(SKIP_1) | instid1(VALU_DEP_2)
	v_mul_u32_u24_e32 v23, 9, v10
	v_lshlrev_b32_e32 v10, 1, v10
	v_lshlrev_b32_e32 v23, 2, v23
	s_clause 0x1
	global_load_b128 v[31:34], v23, s[8:9] offset:108
	global_load_b32 v43, v14, s[8:9] offset:140
	ds_load_u16 v44, v0 offset:720
	ds_load_u16 v53, v0 offset:1260
	;; [unrolled: 1-line block ×23, first 2 shown]
	v_add3_u32 v10, 0, v13, v10
	s_wait_loadcnt 0x3
	v_lshrrev_b32_e32 v85, 16, v19
	v_lshrrev_b32_e32 v89, 16, v20
	;; [unrolled: 1-line block ×4, first 2 shown]
	s_wait_dscnt 0xd
	v_mul_f16_e32 v90, v40, v85
	v_mul_f16_e32 v85, v41, v85
	;; [unrolled: 1-line block ×4, first 2 shown]
	s_delay_alu instid0(VALU_DEP_4) | instskip(SKIP_1) | instid1(VALU_DEP_4)
	v_fmac_f16_e32 v90, v41, v19
	v_sub_nc_u16 v41, v9, v92
	v_fmac_f16_e32 v94, v17, v20
	s_delay_alu instid0(VALU_DEP_4)
	v_fma_f16 v89, v39, v20, -v89
	v_fma_f16 v85, v40, v19, -v85
	s_wait_dscnt 0x7
	v_mul_f16_e32 v92, v65, v91
	v_and_b32_e32 v17, 0xffff, v41
	v_mul_f16_e32 v19, v48, v91
	v_mul_f16_e32 v91, v62, v93
	s_delay_alu instid0(VALU_DEP_4) | instskip(NEXT) | instid1(VALU_DEP_4)
	v_fmac_f16_e32 v92, v48, v21
	v_lshlrev_b32_e32 v12, 1, v17
	v_mul_u32_u24_e32 v20, 9, v17
	v_fma_f16 v95, v65, v21, -v19
	v_mul_f16_e32 v19, v42, v93
	v_fmac_f16_e32 v91, v42, v22
	v_add3_u32 v12, 0, v6, v12
	v_mov_b32_e32 v6, 0
	v_lshlrev_b32_e32 v20, 2, v20
	s_wait_loadcnt 0x2
	v_lshrrev_b32_e32 v21, 16, v27
	v_lshrrev_b32_e32 v48, 16, v28
	v_fma_f16 v93, v62, v22, -v19
	v_mov_b32_e32 v13, v6
	ds_load_u16 v86, v0 offset:5040
	ds_load_u16 v87, v0 offset:5220
	;; [unrolled: 1-line block ×3, first 2 shown]
	s_clause 0x2
	global_load_b128 v[35:38], v23, s[8:9] offset:124
	global_load_b128 v[39:42], v20, s[8:9] offset:108
	global_load_b32 v23, v23, s[8:9] offset:140
	v_mul_f16_e32 v96, v60, v21
	v_mul_f16_e32 v19, v47, v21
	v_lshrrev_b32_e32 v21, 16, v29
	v_lshrrev_b32_e32 v22, 16, v30
	s_wait_dscnt 0x4
	v_mul_f16_e32 v97, v83, v48
	v_fmac_f16_e32 v96, v47, v27
	v_fma_f16 v98, v60, v27, -v19
	v_mul_f16_e32 v19, v54, v48
	v_mul_f16_e32 v99, v81, v21
	v_mul_f16_e32 v100, v52, v22
	v_fmac_f16_e32 v97, v54, v28
	v_mul_f16_e32 v21, v49, v21
	v_fma_f16 v83, v83, v28, -v19
	v_fmac_f16_e32 v99, v49, v29
	v_fmac_f16_e32 v100, v46, v30
	v_mul_f16_e32 v19, v46, v22
	s_clause 0x1
	global_load_b128 v[46:49], v20, s[8:9] offset:124
	global_load_b32 v28, v20, s[8:9] offset:140
	s_wait_loadcnt 0x6
	v_lshrrev_b32_e32 v20, 16, v32
	v_fma_f16 v81, v81, v29, -v21
	ds_load_u16 v21, v0 offset:4860
	v_fma_f16 v30, v52, v30, -v19
	v_lshrrev_b32_e32 v19, 16, v31
	v_mul_f16_e32 v101, v53, v20
	s_delay_alu instid0(VALU_DEP_2) | instskip(SKIP_1) | instid1(VALU_DEP_3)
	v_mul_f16_e32 v52, v44, v19
	v_mul_f16_e32 v19, v16, v19
	v_fmac_f16_e32 v101, v24, v32
	s_delay_alu instid0(VALU_DEP_3)
	v_fmac_f16_e32 v52, v16, v31
	v_mul_f16_e32 v16, v24, v20
	v_lshrrev_b32_e32 v20, 16, v33
	v_fma_f16 v54, v44, v31, -v19
	ds_load_u16 v19, v0 offset:2880
	ds_load_u16 v105, v0
	ds_load_u16 v44, v0 offset:180
	v_fma_f16 v102, v53, v32, -v16
	v_mul_f16_e32 v62, v55, v20
	v_mul_f16_e32 v16, v25, v20
	v_lshrrev_b32_e32 v20, 16, v34
	global_wb scope:SCOPE_SE
	s_wait_loadcnt_dscnt 0x0
	s_barrier_signal -1
	v_fmac_f16_e32 v62, v25, v33
	v_fma_f16 v60, v55, v33, -v16
	v_mul_f16_e32 v103, v63, v20
	v_lshrrev_b32_e32 v16, 16, v43
	v_mul_f16_e32 v20, v45, v20
	s_barrier_wait -1
	global_inv scope:SCOPE_SE
	v_fmac_f16_e32 v103, v45, v34
	v_mul_f16_e32 v22, v66, v16
	v_fma_f16 v104, v63, v34, -v20
	v_mul_f16_e32 v31, v21, v16
	v_add_nc_u32_e32 v16, 0x10e, v15
	s_delay_alu instid0(VALU_DEP_4) | instskip(NEXT) | instid1(VALU_DEP_3)
	v_fma_f16 v32, v21, v43, -v22
	v_fmac_f16_e32 v31, v66, v43
	s_delay_alu instid0(VALU_DEP_1) | instskip(SKIP_3) | instid1(VALU_DEP_3)
	v_sub_f16_e32 v53, v99, v31
	v_lshrrev_b32_e32 v20, 16, v35
	v_lshrrev_b32_e32 v24, 16, v36
	;; [unrolled: 1-line block ×3, first 2 shown]
	v_mul_f16_e32 v65, v19, v20
	v_mul_f16_e32 v20, v50, v20
	s_delay_alu instid0(VALU_DEP_4)
	v_mul_f16_e32 v106, v64, v24
	v_mul_f16_e32 v22, v51, v24
	v_lshrrev_b32_e32 v24, 16, v38
	v_mul_f16_e32 v66, v67, v21
	v_fma_f16 v63, v19, v35, -v20
	v_mul_f16_e32 v19, v61, v21
	v_lshrrev_b32_e32 v20, 16, v23
	v_mul_f16_e32 v21, v56, v24
	v_mul_f16_e32 v108, v68, v24
	v_fma_f16 v107, v64, v36, -v22
	v_fma_f16 v64, v67, v37, -v19
	v_mul_f16_e32 v67, v86, v20
	v_fma_f16 v68, v68, v38, -v21
	v_lshrrev_b32_e32 v21, 16, v40
	v_mul_f16_e32 v19, v74, v20
	v_lshrrev_b32_e32 v22, 16, v41
	v_fmac_f16_e32 v65, v50, v35
	v_fmac_f16_e32 v66, v61, v37
	v_mul_f16_e32 v43, v79, v21
	v_mul_f16_e32 v21, v69, v21
	v_fmac_f16_e32 v67, v74, v23
	v_fma_f16 v61, v86, v23, -v19
	v_lshrrev_b32_e32 v23, 16, v42
	v_lshrrev_b32_e32 v20, 16, v39
	v_fma_f16 v35, v79, v40, -v21
	v_mul_f16_e32 v21, v59, v22
	v_fmac_f16_e32 v43, v69, v40
	v_mul_f16_e32 v24, v78, v22
	v_mul_f16_e32 v40, v77, v23
	;; [unrolled: 1-line block ×3, first 2 shown]
	v_fma_f16 v23, v78, v41, -v21
	v_lshrrev_b32_e32 v21, 16, v47
	v_mul_f16_e32 v19, v72, v20
	v_mul_f16_e32 v20, v57, v20
	v_lshrrev_b32_e32 v27, 16, v46
	v_lshrrev_b32_e32 v29, 16, v49
	v_mul_f16_e32 v34, v71, v21
	v_fmac_f16_e32 v106, v51, v36
	v_fmac_f16_e32 v19, v57, v39
	v_fma_f16 v20, v72, v39, -v20
	v_fmac_f16_e32 v24, v59, v41
	v_fma_f16 v39, v77, v42, -v22
	v_lshrrev_b32_e32 v22, 16, v48
	v_mul_f16_e32 v33, v73, v27
	v_mul_f16_e32 v45, v82, v21
	v_fma_f16 v41, v82, v47, -v34
	v_add_f16_e32 v34, v91, v97
	v_mul_f16_e32 v55, v88, v29
	v_mul_f16_e32 v36, v76, v29
	v_fmac_f16_e32 v108, v56, v38
	v_mul_f16_e32 v25, v84, v27
	v_mul_f16_e32 v27, v80, v22
	v_fma_f16 v21, v84, v46, -v33
	v_mul_f16_e32 v22, v70, v22
	v_fmac_f16_e32 v45, v71, v47
	v_lshrrev_b32_e32 v33, 16, v28
	v_add_f16_e32 v37, v26, v94
	v_fma_f16 v38, -0.5, v34, v26
	v_sub_f16_e32 v34, v89, v30
	v_fmac_f16_e32 v55, v76, v49
	v_fma_f16 v47, v88, v49, -v36
	v_add_f16_e32 v49, v94, v100
	v_fmac_f16_e32 v40, v58, v42
	v_fmac_f16_e32 v25, v73, v46
	v_fmac_f16_e32 v27, v70, v48
	v_fma_f16 v22, v80, v48, -v22
	v_mul_f16_e32 v29, v87, v33
	v_add_f16_e32 v36, v37, v91
	v_fmamk_f16 v37, v34, 0xbb9c, v38
	v_sub_f16_e32 v42, v93, v83
	v_sub_f16_e32 v46, v94, v91
	;; [unrolled: 1-line block ×3, first 2 shown]
	v_mul_f16_e32 v33, v75, v33
	v_fmac_f16_e32 v26, -0.5, v49
	v_fmac_f16_e32 v38, 0x3b9c, v34
	v_add_f16_e32 v49, v105, v89
	v_fmac_f16_e32 v29, v75, v28
	v_fmac_f16_e32 v37, 0xb8b4, v42
	v_add_f16_e32 v46, v46, v48
	v_fma_f16 v28, v87, v28, -v33
	v_fmamk_f16 v58, v42, 0x3b9c, v26
	v_sub_f16_e32 v33, v91, v94
	v_sub_f16_e32 v48, v97, v100
	v_fmac_f16_e32 v38, 0x38b4, v42
	v_add_f16_e32 v50, v93, v83
	v_fmac_f16_e32 v26, 0xbb9c, v42
	v_add_f16_e32 v42, v49, v93
	v_fmac_f16_e32 v37, 0x34f2, v46
	v_fmac_f16_e32 v58, 0xb8b4, v34
	v_add_f16_e32 v33, v33, v48
	v_fma_f16 v69, -0.5, v50, v105
	v_sub_f16_e32 v48, v94, v100
	v_fmac_f16_e32 v38, 0x34f2, v46
	v_fmac_f16_e32 v26, 0x38b4, v34
	v_add_f16_e32 v34, v42, v83
	v_add_f16_e32 v46, v89, v30
	v_sub_f16_e32 v50, v89, v93
	v_sub_f16_e32 v51, v30, v83
	v_fmac_f16_e32 v58, 0x34f2, v33
	v_fmamk_f16 v42, v48, 0x3b9c, v69
	v_sub_f16_e32 v49, v91, v97
	v_fmac_f16_e32 v26, 0x34f2, v33
	v_fmac_f16_e32 v105, -0.5, v46
	v_add_f16_e32 v46, v34, v30
	v_add_f16_e32 v33, v50, v51
	v_fmac_f16_e32 v69, 0xbb9c, v48
	v_sub_f16_e32 v34, v93, v89
	v_sub_f16_e32 v30, v83, v30
	v_add_f16_e32 v50, v90, v92
	v_fmac_f16_e32 v42, 0x38b4, v49
	v_fmamk_f16 v70, v49, 0xbb9c, v105
	v_fmac_f16_e32 v69, 0xb8b4, v49
	v_add_f16_e32 v30, v34, v30
	v_fmac_f16_e32 v105, 0x3b9c, v49
	v_add_f16_e32 v34, v50, v96
	v_add_f16_e32 v49, v96, v99
	v_fmac_f16_e32 v42, 0x34f2, v33
	v_fmac_f16_e32 v70, 0x38b4, v48
	;; [unrolled: 1-line block ×4, first 2 shown]
	v_add_f16_e32 v33, v34, v99
	v_fma_f16 v34, -0.5, v49, v90
	v_add_f16_e32 v48, v92, v31
	v_sub_f16_e32 v49, v95, v32
	v_fmac_f16_e32 v70, 0x34f2, v30
	v_fmac_f16_e32 v105, 0x34f2, v30
	v_add_f16_e32 v56, v33, v31
	v_sub_f16_e32 v30, v98, v81
	v_fmac_f16_e32 v90, -0.5, v48
	v_fmamk_f16 v33, v49, 0xbb9c, v34
	v_sub_f16_e32 v48, v92, v96
	v_sub_f16_e32 v50, v31, v99
	v_fmac_f16_e32 v34, 0x3b9c, v49
	v_fmamk_f16 v57, v30, 0x3b9c, v90
	v_sub_f16_e32 v51, v96, v92
	v_fmac_f16_e32 v33, 0xb8b4, v30
	v_add_f16_e32 v48, v48, v50
	v_fmac_f16_e32 v34, 0x38b4, v30
	v_fmac_f16_e32 v90, 0xbb9c, v30
	v_add_f16_e32 v30, v98, v81
	v_fmac_f16_e32 v57, 0xb8b4, v49
	v_add_f16_e32 v50, v51, v53
	v_fmac_f16_e32 v33, 0x34f2, v48
	v_fmac_f16_e32 v34, 0x34f2, v48
	v_fmac_f16_e32 v90, 0x38b4, v49
	v_add_f16_e32 v48, v95, v32
	v_fma_f16 v30, -0.5, v30, v85
	v_sub_f16_e32 v31, v92, v31
	v_fmac_f16_e32 v57, 0x34f2, v50
	v_add_f16_e32 v49, v85, v95
	v_sub_f16_e32 v51, v96, v99
	v_fmac_f16_e32 v85, -0.5, v48
	v_fmac_f16_e32 v90, 0x34f2, v50
	v_fmamk_f16 v53, v31, 0x3b9c, v30
	v_sub_f16_e32 v48, v95, v98
	v_sub_f16_e32 v50, v32, v81
	v_fmamk_f16 v59, v51, 0xbb9c, v85
	v_sub_f16_e32 v71, v98, v95
	v_sub_f16_e32 v72, v81, v32
	v_fmac_f16_e32 v85, 0x3b9c, v51
	v_fmac_f16_e32 v53, 0x38b4, v51
	v_add_f16_e32 v48, v48, v50
	v_fmac_f16_e32 v59, 0x38b4, v31
	v_add_f16_e32 v50, v71, v72
	v_fmac_f16_e32 v85, 0xb8b4, v31
	v_fmac_f16_e32 v30, 0xbb9c, v31
	;; [unrolled: 1-line block ×3, first 2 shown]
	v_add_f16_e32 v36, v36, v97
	v_add_f16_e32 v31, v49, v98
	v_fmac_f16_e32 v59, 0x34f2, v50
	v_fmac_f16_e32 v85, 0x34f2, v50
	;; [unrolled: 1-line block ×3, first 2 shown]
	v_mul_f16_e32 v71, 0xb8b4, v53
	v_add_f16_e32 v36, v36, v100
	v_add_f16_e32 v31, v31, v81
	v_mul_f16_e32 v72, 0xbb9c, v59
	v_mul_f16_e32 v73, 0xbb9c, v85
	v_fmac_f16_e32 v30, 0x34f2, v48
	v_fmac_f16_e32 v71, 0x3a79, v33
	v_mul_f16_e32 v77, 0x34f2, v59
	v_add_f16_e32 v74, v31, v32
	v_fmac_f16_e32 v72, 0x34f2, v57
	v_fmac_f16_e32 v73, 0xb4f2, v90
	v_mul_f16_e32 v75, 0xb8b4, v30
	v_add_f16_e32 v48, v36, v56
	v_add_f16_e32 v49, v37, v71
	v_mul_f16_e32 v76, 0x3a79, v53
	v_fmac_f16_e32 v77, 0x3b9c, v57
	v_sub_f16_e32 v56, v36, v56
	v_sub_f16_e32 v57, v37, v71
	v_add_f16_e32 v36, v103, v106
	v_add_f16_e32 v71, v18, v101
	;; [unrolled: 1-line block ×4, first 2 shown]
	v_fmac_f16_e32 v75, 0xba79, v34
	v_mul_f16_e32 v78, 0xb4f2, v85
	v_mul_f16_e32 v79, 0xba79, v30
	v_fmac_f16_e32 v76, 0x38b4, v33
	v_add_f16_e32 v30, v46, v74
	v_sub_f16_e32 v58, v58, v72
	v_sub_f16_e32 v26, v26, v73
	v_fma_f16 v72, -0.5, v36, v18
	v_sub_f16_e32 v73, v102, v68
	v_sub_f16_e32 v36, v46, v74
	v_add_f16_e32 v46, v71, v103
	v_add_f16_e32 v53, v38, v75
	v_fmac_f16_e32 v78, 0x3b9c, v90
	v_fmac_f16_e32 v79, 0x38b4, v34
	v_add_f16_e32 v31, v42, v76
	v_add_f16_e32 v32, v70, v77
	v_sub_f16_e32 v59, v38, v75
	v_sub_f16_e32 v37, v42, v76
	;; [unrolled: 1-line block ×3, first 2 shown]
	v_fmamk_f16 v70, v73, 0xbb9c, v72
	v_sub_f16_e32 v71, v104, v107
	v_sub_f16_e32 v74, v101, v103
	v_sub_f16_e32 v75, v108, v106
	v_add_f16_e32 v76, v101, v108
	v_add_f16_e32 v77, v46, v106
	v_fmac_f16_e32 v72, 0x3b9c, v73
	v_add_f16_e32 v33, v105, v78
	v_add_f16_e32 v34, v69, v79
	v_sub_f16_e32 v42, v105, v78
	v_fmac_f16_e32 v70, 0xb8b4, v71
	v_add_f16_e32 v74, v74, v75
	v_fmac_f16_e32 v18, -0.5, v76
	v_sub_f16_e32 v46, v69, v79
	v_add_f16_e32 v69, v77, v108
	v_sub_f16_e32 v76, v103, v101
	v_sub_f16_e32 v77, v106, v108
	v_fmac_f16_e32 v72, 0x38b4, v71
	v_add_f16_e32 v78, v44, v102
	v_add_f16_e32 v79, v104, v107
	v_fmac_f16_e32 v70, 0x34f2, v74
	v_fmamk_f16 v75, v71, 0x3b9c, v18
	v_add_f16_e32 v76, v76, v77
	v_fmac_f16_e32 v18, 0xbb9c, v71
	v_add_f16_e32 v71, v78, v104
	v_fma_f16 v77, -0.5, v79, v44
	v_sub_f16_e32 v78, v101, v108
	v_fmac_f16_e32 v72, 0x34f2, v74
	v_add_f16_e32 v74, v102, v68
	v_sub_f16_e32 v80, v102, v104
	v_sub_f16_e32 v81, v68, v107
	v_fmac_f16_e32 v75, 0xb8b4, v73
	v_fmac_f16_e32 v18, 0x38b4, v73
	v_add_f16_e32 v71, v71, v107
	v_fmamk_f16 v73, v78, 0x3b9c, v77
	v_sub_f16_e32 v79, v103, v106
	v_fmac_f16_e32 v44, -0.5, v74
	v_add_f16_e32 v74, v80, v81
	v_fmac_f16_e32 v77, 0xbb9c, v78
	v_add_f16_e32 v81, v52, v62
	v_fmac_f16_e32 v75, 0x34f2, v76
	v_fmac_f16_e32 v18, 0x34f2, v76
	v_add_f16_e32 v71, v71, v68
	v_fmac_f16_e32 v73, 0x38b4, v79
	v_fmamk_f16 v76, v79, 0xbb9c, v44
	v_sub_f16_e32 v80, v104, v102
	v_sub_f16_e32 v68, v107, v68
	v_fmac_f16_e32 v77, 0xb8b4, v79
	v_fmac_f16_e32 v44, 0x3b9c, v79
	v_add_f16_e32 v79, v81, v65
	v_fmac_f16_e32 v73, 0x34f2, v74
	v_fmac_f16_e32 v76, 0x38b4, v78
	v_add_f16_e32 v68, v80, v68
	v_add_f16_e32 v80, v65, v66
	v_fmac_f16_e32 v77, 0x34f2, v74
	v_fmac_f16_e32 v44, 0xb8b4, v78
	v_add_f16_e32 v74, v79, v66
	v_add_f16_e32 v79, v62, v67
	v_fmac_f16_e32 v76, 0x34f2, v68
	v_fma_f16 v78, -0.5, v80, v52
	v_sub_f16_e32 v80, v60, v61
	v_fmac_f16_e32 v44, 0x34f2, v68
	v_add_f16_e32 v68, v74, v67
	v_sub_f16_e32 v74, v63, v64
	v_fmac_f16_e32 v52, -0.5, v79
	v_fmamk_f16 v79, v80, 0xbb9c, v78
	v_fmac_f16_e32 v78, 0x3b9c, v80
	v_sub_f16_e32 v81, v62, v65
	v_sub_f16_e32 v82, v67, v66
	v_fmamk_f16 v83, v74, 0x3b9c, v52
	v_fmac_f16_e32 v52, 0xbb9c, v74
	v_sub_f16_e32 v84, v65, v62
	v_sub_f16_e32 v85, v66, v67
	v_fmac_f16_e32 v79, 0xb8b4, v74
	v_fmac_f16_e32 v78, 0x38b4, v74
	;; [unrolled: 1-line block ×3, first 2 shown]
	v_add_f16_e32 v74, v63, v64
	v_fmac_f16_e32 v52, 0x38b4, v80
	v_add_f16_e32 v80, v60, v61
	v_add_f16_e32 v81, v81, v82
	;; [unrolled: 1-line block ×3, first 2 shown]
	v_fma_f16 v74, -0.5, v74, v54
	v_sub_f16_e32 v62, v62, v67
	v_add_f16_e32 v67, v54, v60
	v_sub_f16_e32 v65, v65, v66
	v_fmac_f16_e32 v54, -0.5, v80
	v_fmac_f16_e32 v83, 0x34f2, v82
	v_fmac_f16_e32 v52, 0x34f2, v82
	v_sub_f16_e32 v80, v60, v63
	v_sub_f16_e32 v60, v63, v60
	v_fmamk_f16 v82, v65, 0xbb9c, v54
	v_sub_f16_e32 v84, v64, v61
	v_fmac_f16_e32 v54, 0x3b9c, v65
	v_fmac_f16_e32 v79, 0x34f2, v81
	;; [unrolled: 1-line block ×3, first 2 shown]
	v_fmamk_f16 v66, v62, 0x3b9c, v74
	v_sub_f16_e32 v81, v61, v64
	v_fmac_f16_e32 v82, 0x38b4, v62
	v_add_f16_e32 v60, v60, v84
	v_fmac_f16_e32 v54, 0xb8b4, v62
	v_fmac_f16_e32 v66, 0x38b4, v65
	v_add_f16_e32 v80, v80, v81
	v_fmac_f16_e32 v74, 0xbb9c, v62
	v_add_f16_e32 v62, v67, v63
	v_fmac_f16_e32 v82, 0x34f2, v60
	v_fmac_f16_e32 v54, 0x34f2, v60
	;; [unrolled: 1-line block ×4, first 2 shown]
	v_add_f16_e32 v60, v62, v64
	v_mul_f16_e32 v63, 0xbb9c, v82
	v_mul_f16_e32 v64, 0xbb9c, v54
	v_mul_f16_e32 v82, 0x34f2, v82
	v_mul_f16_e32 v62, 0xb8b4, v66
	v_fmac_f16_e32 v74, 0x34f2, v80
	v_add_f16_e32 v60, v60, v61
	v_fmac_f16_e32 v64, 0xb4f2, v52
	v_mul_f16_e32 v66, 0x3a79, v66
	v_mul_f16_e32 v54, 0xb4f2, v54
	v_fmac_f16_e32 v82, 0x3b9c, v83
	v_fmac_f16_e32 v62, 0x3a79, v79
	v_fmac_f16_e32 v63, 0x34f2, v83
	v_mul_f16_e32 v61, 0xb8b4, v74
	v_add_f16_e32 v65, v69, v68
	v_add_f16_e32 v81, v18, v64
	v_mul_f16_e32 v74, 0xba79, v74
	v_fmac_f16_e32 v66, 0x38b4, v79
	v_fmac_f16_e32 v54, 0x3b9c, v52
	v_add_f16_e32 v52, v71, v60
	v_add_f16_e32 v79, v76, v82
	v_sub_f16_e32 v68, v69, v68
	v_add_f16_e32 v69, v40, v45
	v_sub_f16_e32 v18, v18, v64
	;; [unrolled: 2-line block ×3, first 2 shown]
	v_sub_f16_e32 v71, v76, v82
	v_add_f16_e32 v82, v43, v55
	v_add_f16_e32 v67, v70, v62
	;; [unrolled: 1-line block ×3, first 2 shown]
	v_fmac_f16_e32 v61, 0xba79, v78
	v_fmac_f16_e32 v74, 0x38b4, v78
	v_add_f16_e32 v78, v73, v66
	v_sub_f16_e32 v62, v70, v62
	v_sub_f16_e32 v63, v75, v63
	v_fma_f16 v69, -0.5, v69, v11
	v_sub_f16_e32 v70, v35, v47
	v_sub_f16_e32 v66, v73, v66
	v_add_f16_e32 v64, v64, v40
	v_sub_f16_e32 v73, v39, v41
	v_sub_f16_e32 v75, v43, v40
	;; [unrolled: 1-line block ×3, first 2 shown]
	v_fmac_f16_e32 v11, -0.5, v82
	v_add_f16_e32 v84, v72, v61
	v_add_f16_e32 v83, v44, v54
	v_sub_f16_e32 v61, v72, v61
	v_fmamk_f16 v72, v70, 0xbb9c, v69
	v_sub_f16_e32 v44, v44, v54
	v_add_f16_e32 v54, v64, v45
	v_add_f16_e32 v64, v75, v76
	v_fmac_f16_e32 v69, 0x3b9c, v70
	v_fmamk_f16 v75, v73, 0x3b9c, v11
	v_add_f16_e32 v82, v14, v35
	v_fmac_f16_e32 v11, 0xbb9c, v73
	v_add_f16_e32 v85, v77, v74
	v_fmac_f16_e32 v72, 0xb8b4, v73
	v_sub_f16_e32 v74, v77, v74
	v_sub_f16_e32 v76, v40, v43
	;; [unrolled: 1-line block ×3, first 2 shown]
	v_fmac_f16_e32 v69, 0x38b4, v73
	v_add_f16_e32 v86, v39, v41
	v_fmac_f16_e32 v75, 0xb8b4, v70
	v_add_f16_e32 v73, v82, v39
	;; [unrolled: 2-line block ×3, first 2 shown]
	v_add_f16_e32 v54, v54, v55
	v_add_f16_e32 v76, v76, v77
	v_fma_f16 v77, -0.5, v86, v14
	v_sub_f16_e32 v43, v43, v55
	v_add_f16_e32 v55, v73, v41
	v_sub_f16_e32 v40, v40, v45
	v_sub_f16_e32 v45, v35, v39
	;; [unrolled: 1-line block ×3, first 2 shown]
	v_fmac_f16_e32 v14, -0.5, v70
	v_sub_f16_e32 v35, v39, v35
	v_sub_f16_e32 v39, v41, v47
	v_add_f16_e32 v41, v19, v24
	v_fmac_f16_e32 v72, 0x34f2, v64
	v_fmac_f16_e32 v69, 0x34f2, v64
	v_fmamk_f16 v64, v43, 0x3b9c, v77
	v_fmac_f16_e32 v77, 0xbb9c, v43
	v_fmamk_f16 v70, v40, 0xbb9c, v14
	v_add_f16_e32 v35, v35, v39
	v_fmac_f16_e32 v14, 0x3b9c, v40
	v_add_f16_e32 v39, v41, v25
	v_fmac_f16_e32 v64, 0x38b4, v40
	v_fmac_f16_e32 v77, 0xb8b4, v40
	;; [unrolled: 1-line block ×3, first 2 shown]
	v_add_f16_e32 v40, v25, v27
	v_fmac_f16_e32 v14, 0xb8b4, v43
	v_add_f16_e32 v39, v39, v27
	v_add_f16_e32 v41, v24, v29
	v_fmac_f16_e32 v70, 0x34f2, v35
	v_fma_f16 v40, -0.5, v40, v19
	v_sub_f16_e32 v43, v23, v28
	v_fmac_f16_e32 v14, 0x34f2, v35
	v_add_f16_e32 v35, v39, v29
	v_sub_f16_e32 v39, v21, v22
	v_fmac_f16_e32 v19, -0.5, v41
	v_add_f16_e32 v45, v45, v73
	v_fmamk_f16 v41, v43, 0xbb9c, v40
	v_fmac_f16_e32 v40, 0x3b9c, v43
	v_fmac_f16_e32 v75, 0x34f2, v76
	v_fmamk_f16 v73, v39, 0x3b9c, v19
	v_fmac_f16_e32 v19, 0xbb9c, v39
	v_fmac_f16_e32 v11, 0x34f2, v76
	v_add_f16_e32 v55, v55, v47
	v_fmac_f16_e32 v64, 0x34f2, v45
	v_fmac_f16_e32 v77, 0x34f2, v45
	v_sub_f16_e32 v45, v24, v25
	v_sub_f16_e32 v47, v29, v27
	;; [unrolled: 1-line block ×4, first 2 shown]
	v_fmac_f16_e32 v41, 0xb8b4, v39
	v_fmac_f16_e32 v40, 0x38b4, v39
	;; [unrolled: 1-line block ×3, first 2 shown]
	v_add_f16_e32 v39, v21, v22
	v_fmac_f16_e32 v19, 0x38b4, v43
	v_add_f16_e32 v43, v23, v28
	v_add_f16_e32 v45, v45, v47
	;; [unrolled: 1-line block ×3, first 2 shown]
	v_fma_f16 v39, -0.5, v39, v20
	v_sub_f16_e32 v24, v24, v29
	v_add_f16_e32 v29, v20, v23
	v_sub_f16_e32 v25, v25, v27
	v_fmac_f16_e32 v20, -0.5, v43
	v_fmac_f16_e32 v73, 0x34f2, v47
	v_fmac_f16_e32 v19, 0x34f2, v47
	v_sub_f16_e32 v43, v23, v21
	v_sub_f16_e32 v23, v21, v23
	v_fmamk_f16 v47, v25, 0xbb9c, v20
	v_sub_f16_e32 v76, v22, v28
	v_fmac_f16_e32 v20, 0x3b9c, v25
	v_fmac_f16_e32 v41, 0x34f2, v45
	;; [unrolled: 1-line block ×3, first 2 shown]
	v_fmamk_f16 v27, v24, 0x3b9c, v39
	v_sub_f16_e32 v45, v28, v22
	v_fmac_f16_e32 v39, 0xbb9c, v24
	v_add_f16_e32 v23, v23, v76
	v_fmac_f16_e32 v20, 0xb8b4, v24
	v_fmac_f16_e32 v27, 0x38b4, v25
	v_add_f16_e32 v43, v43, v45
	v_fmac_f16_e32 v47, 0x38b4, v24
	;; [unrolled: 3-line block ×3, first 2 shown]
	v_fmac_f16_e32 v27, 0x34f2, v43
	v_fmac_f16_e32 v47, 0x34f2, v23
	v_fmac_f16_e32 v39, 0x34f2, v43
	v_add_f16_e32 v21, v21, v22
	v_mul_f16_e32 v24, 0xbb9c, v20
	v_mul_f16_e32 v20, 0xb4f2, v20
	;; [unrolled: 1-line block ×8, first 2 shown]
	v_add_f16_e32 v21, v21, v28
	v_fmac_f16_e32 v20, 0x3b9c, v19
	v_fmac_f16_e32 v22, 0x3a79, v41
	;; [unrolled: 1-line block ×8, first 2 shown]
	v_add_f16_e32 v40, v55, v21
	v_add_f16_e32 v82, v14, v20
	v_sub_f16_e32 v14, v14, v20
	v_add_f16_e32 v29, v72, v22
	v_add_f16_e32 v43, v75, v23
	;; [unrolled: 1-line block ×6, first 2 shown]
	v_sub_f16_e32 v19, v54, v35
	v_sub_f16_e32 v22, v72, v22
	;; [unrolled: 1-line block ×6, first 2 shown]
	v_add_f16_e32 v28, v54, v35
	v_add_f16_e32 v73, v70, v47
	v_sub_f16_e32 v35, v55, v21
	v_sub_f16_e32 v27, v64, v27
	;; [unrolled: 1-line block ×3, first 2 shown]
	ds_store_b16 v8, v48
	ds_store_b16 v8, v49 offset:60
	ds_store_b16 v8, v50 offset:120
	ds_store_b16 v8, v51 offset:180
	ds_store_b16 v8, v53 offset:240
	ds_store_b16 v8, v56 offset:300
	ds_store_b16 v8, v57 offset:360
	ds_store_b16 v8, v58 offset:420
	ds_store_b16 v8, v26 offset:480
	ds_store_b16 v8, v59 offset:540
	ds_store_b16 v10, v65
	ds_store_b16 v10, v67 offset:60
	ds_store_b16 v10, v80 offset:120
	ds_store_b16 v10, v81 offset:180
	ds_store_b16 v10, v84 offset:240
	ds_store_b16 v10, v68 offset:300
	ds_store_b16 v10, v62 offset:360
	ds_store_b16 v10, v63 offset:420
	ds_store_b16 v10, v18 offset:480
	ds_store_b16 v10, v61 offset:540
	;; [unrolled: 10-line block ×3, first 2 shown]
	global_wb scope:SCOPE_SE
	s_wait_dscnt 0x0
	s_barrier_signal -1
	s_barrier_wait -1
	global_inv scope:SCOPE_SE
	ds_load_u16 v49, v0 offset:3780
	ds_load_u16 v55, v0 offset:3960
	;; [unrolled: 1-line block ×8, first 2 shown]
	ds_load_u16 v24, v0
	ds_load_u16 v26, v0 offset:180
	ds_load_u16 v25, v0 offset:360
	;; [unrolled: 1-line block ×21, first 2 shown]
	global_wb scope:SCOPE_SE
	s_wait_dscnt 0x0
	s_barrier_signal -1
	s_barrier_wait -1
	global_inv scope:SCOPE_SE
	ds_store_b16 v8, v30
	ds_store_b16 v8, v31 offset:60
	ds_store_b16 v8, v32 offset:120
	;; [unrolled: 1-line block ×9, first 2 shown]
	ds_store_b16 v10, v52
	ds_store_b16 v10, v78 offset:60
	ds_store_b16 v10, v79 offset:120
	;; [unrolled: 1-line block ×9, first 2 shown]
	v_lshlrev_b64_e32 v[10:11], 2, v[5:6]
	ds_store_b16 v12, v40
	ds_store_b16 v12, v41 offset:60
	ds_store_b16 v12, v73 offset:120
	;; [unrolled: 1-line block ×9, first 2 shown]
	v_lshlrev_b32_e32 v12, 1, v7
	v_subrev_nc_u32_e32 v14, 30, v15
	global_wb scope:SCOPE_SE
	s_wait_dscnt 0x0
	v_add_co_u32 v7, s0, s8, v10
	s_wait_alu 0xf1ff
	v_add_co_ci_u32_e64 v8, s0, s9, v11, s0
	v_lshlrev_b64_e32 v[10:11], 2, v[12:13]
	v_lshlrev_b32_e32 v12, 1, v9
	s_barrier_signal -1
	s_barrier_wait -1
	global_inv scope:SCOPE_SE
	global_load_b64 v[30:31], v[7:8], off offset:1188
	v_add_co_u32 v9, s0, s8, v10
	s_wait_alu 0xf1ff
	v_add_co_ci_u32_e64 v10, s0, s9, v11, s0
	v_cmp_gt_u32_e64 s0, 30, v15
	v_lshlrev_b64_e32 v[11:12], 2, v[12:13]
	v_dual_mov_b32 v37, v6 :: v_dual_add_nc_u32 v36, 0x78, v5
	global_load_b64 v[32:33], v[9:10], off offset:1188
	s_wait_alu 0xf1ff
	v_cndmask_b32_e64 v14, v14, v16, s0
	v_add_co_u32 v11, s0, s8, v11
	s_wait_alu 0xf1ff
	v_add_co_ci_u32_e64 v12, s0, s9, v12, s0
	s_delay_alu instid0(VALU_DEP_3) | instskip(SKIP_3) | instid1(VALU_DEP_2)
	v_dual_mov_b32 v14, v6 :: v_dual_lshlrev_b32 v13, 1, v14
	global_load_b64 v[34:35], v[11:12], off offset:1188
	v_lshlrev_b64_e32 v[27:28], 2, v[13:14]
	v_add_nc_u32_e32 v14, 0x21c, v15
	v_add_co_u32 v38, s0, s8, v27
	s_wait_alu 0xf1ff
	s_delay_alu instid0(VALU_DEP_3) | instskip(NEXT) | instid1(VALU_DEP_3)
	v_add_co_ci_u32_e64 v39, s0, s9, v28, s0
	v_lshrrev_b16 v40, 2, v14
	v_lshlrev_b64_e32 v[28:29], 2, v[36:37]
	v_add_nc_u32_e32 v27, 0x276, v15
	global_load_b64 v[36:37], v[38:39], off offset:1188
	v_add_nc_u32_e32 v38, 0x12c, v5
	v_and_b32_e32 v39, 0xffff, v40
	v_add_co_u32 v28, s0, s8, v28
	s_wait_alu 0xf1ff
	v_add_co_ci_u32_e64 v29, s0, s9, v29, s0
	s_delay_alu instid0(VALU_DEP_3)
	v_mul_u32_u24_e32 v42, 0x6d3b, v39
	v_lshrrev_b16 v43, 2, v27
	v_mov_b32_e32 v39, v6
	global_load_b64 v[40:41], v[28:29], off offset:1188
	v_add_nc_u32_e32 v28, 0x2d0, v15
	v_lshrrev_b32_e32 v29, 21, v42
	v_and_b32_e32 v42, 0xffff, v43
	v_lshlrev_b64_e32 v[38:39], 2, v[38:39]
	s_delay_alu instid0(VALU_DEP_4) | instskip(NEXT) | instid1(VALU_DEP_4)
	v_lshrrev_b16 v46, 2, v28
	v_mul_lo_u16 v43, 0x12c, v29
	s_delay_alu instid0(VALU_DEP_4) | instskip(NEXT) | instid1(VALU_DEP_4)
	v_mul_u32_u24_e32 v42, 0x6d3b, v42
	v_add_co_u32 v38, s0, s8, v38
	s_wait_alu 0xf1ff
	v_add_co_ci_u32_e64 v39, s0, s9, v39, s0
	v_sub_nc_u16 v44, v14, v43
	v_lshrrev_b32_e32 v45, 21, v42
	v_cmp_lt_u32_e64 s0, 29, v15
	global_load_b64 v[42:43], v[38:39], off offset:1188
	v_add_nc_u32_e32 v38, 0x32a, v15
	v_and_b32_e32 v39, 0xffff, v44
	v_mul_lo_u16 v44, 0x12c, v45
	v_and_b32_e32 v45, 0xffff, v46
	s_delay_alu instid0(VALU_DEP_4) | instskip(NEXT) | instid1(VALU_DEP_4)
	v_lshrrev_b16 v50, 2, v38
	v_lshlrev_b32_e32 v46, 3, v39
	s_delay_alu instid0(VALU_DEP_4) | instskip(NEXT) | instid1(VALU_DEP_4)
	v_sub_nc_u16 v47, v27, v44
	v_mul_u32_u24_e32 v48, 0x6d3b, v45
	v_lshlrev_b32_e32 v39, 1, v39
	global_load_b64 v[44:45], v46, s[8:9] offset:1188
	v_and_b32_e32 v60, 0xffff, v47
	v_lshrrev_b32_e32 v46, 21, v48
	v_and_b32_e32 v47, 0xffff, v50
	s_delay_alu instid0(VALU_DEP_3) | instskip(NEXT) | instid1(VALU_DEP_3)
	v_lshlrev_b32_e32 v48, 3, v60
	v_mul_lo_u16 v50, 0x12c, v46
	s_delay_alu instid0(VALU_DEP_3) | instskip(SKIP_4) | instid1(VALU_DEP_2)
	v_mul_u32_u24_e32 v51, 0x6d3b, v47
	v_lshl_add_u32 v60, v60, 1, 0
	global_load_b64 v[46:47], v48, s[8:9] offset:1188
	v_sub_nc_u16 v48, v28, v50
	v_lshrrev_b32_e32 v50, 21, v51
	v_and_b32_e32 v66, 0xffff, v48
	s_delay_alu instid0(VALU_DEP_2) | instskip(NEXT) | instid1(VALU_DEP_2)
	v_mul_lo_u16 v48, 0x12c, v50
	v_lshlrev_b32_e32 v50, 3, v66
	s_delay_alu instid0(VALU_DEP_2) | instskip(SKIP_3) | instid1(VALU_DEP_1)
	v_sub_nc_u16 v48, v38, v48
	v_lshl_add_u32 v66, v66, 1, 0
	global_load_b64 v[51:52], v50, s[8:9] offset:1188
	v_and_b32_e32 v71, 0xffff, v48
	v_lshlrev_b32_e32 v48, 3, v71
	global_load_b64 v[53:54], v48, s[8:9] offset:1188
	ds_load_u16 v73, v0 offset:1800
	ds_load_u16 v74, v0 offset:3600
	;; [unrolled: 1-line block ×12, first 2 shown]
	s_wait_loadcnt 0x9
	v_lshrrev_b32_e32 v50, 16, v30
	v_lshrrev_b32_e32 v87, 16, v31
	s_wait_dscnt 0xb
	s_delay_alu instid0(VALU_DEP_2)
	v_mul_f16_e32 v88, v73, v50
	v_mul_f16_e32 v90, v67, v50
	s_wait_dscnt 0xa
	v_mul_f16_e32 v91, v74, v87
	ds_load_u16 v50, v0 offset:1440
	v_fmac_f16_e32 v88, v67, v30
	s_wait_loadcnt 0x8
	v_lshrrev_b32_e32 v67, 16, v32
	v_fma_f16 v30, v73, v30, -v90
	v_fmac_f16_e32 v91, v68, v31
	v_mul_f16_e32 v68, v68, v87
	v_lshrrev_b32_e32 v73, 16, v33
	s_wait_dscnt 0xa
	v_mul_f16_e32 v87, v78, v67
	v_mul_f16_e32 v67, v57, v67
	ds_load_u16 v90, v0 offset:2880
	ds_load_u16 v92, v0 offset:3060
	;; [unrolled: 1-line block ×3, first 2 shown]
	v_fma_f16 v31, v74, v31, -v68
	s_wait_dscnt 0xc
	v_mul_f16_e32 v68, v79, v73
	v_fmac_f16_e32 v87, v57, v32
	s_wait_loadcnt 0x7
	v_lshrrev_b32_e32 v57, 16, v34
	v_fma_f16 v32, v78, v32, -v67
	v_mul_f16_e32 v67, v49, v73
	v_fmac_f16_e32 v68, v49, v33
	v_lshrrev_b32_e32 v49, 16, v35
	s_wait_dscnt 0x9
	v_mul_f16_e32 v73, v83, v57
	v_mul_f16_e32 v57, v58, v57
	v_fma_f16 v33, v79, v33, -v67
	v_mul_f16_e32 v74, v81, v49
	s_delay_alu instid0(VALU_DEP_4)
	v_fmac_f16_e32 v73, v58, v34
	ds_load_u16 v58, v0 offset:4320
	v_fma_f16 v34, v83, v34, -v57
	s_wait_loadcnt 0x6
	v_lshrrev_b32_e32 v67, 16, v36
	v_mul_f16_e32 v49, v55, v49
	v_fmac_f16_e32 v74, v55, v35
	v_lshrrev_b32_e32 v55, 16, v37
	s_wait_dscnt 0x9
	v_mul_f16_e32 v57, v84, v67
	v_fma_f16 v35, v81, v35, -v49
	v_mul_f16_e32 v49, v59, v67
	ds_load_u16 v78, v0 offset:4500
	ds_load_u16 v79, v0 offset:4680
	;; [unrolled: 1-line block ×5, first 2 shown]
	v_fmac_f16_e32 v57, v59, v36
	v_mul_f16_e32 v59, v82, v55
	s_wait_loadcnt 0x5
	v_lshrrev_b32_e32 v67, 16, v40
	v_mul_f16_e32 v55, v56, v55
	v_fma_f16 v36, v84, v36, -v49
	v_fmac_f16_e32 v59, v56, v37
	s_wait_dscnt 0xd
	v_mul_f16_e32 v49, v85, v67
	v_lshrrev_b32_e32 v56, 16, v41
	v_fma_f16 v37, v82, v37, -v55
	v_mul_f16_e32 v55, v61, v67
	s_delay_alu instid0(VALU_DEP_4)
	v_fmac_f16_e32 v49, v61, v40
	s_wait_dscnt 0x5
	v_mul_f16_e32 v61, v58, v56
	v_mul_f16_e32 v56, v70, v56
	v_fma_f16 v40, v85, v40, -v55
	s_wait_loadcnt 0x4
	v_lshrrev_b32_e32 v67, 16, v42
	v_lshrrev_b32_e32 v82, 16, v43
	v_fmac_f16_e32 v61, v70, v41
	v_fma_f16 v41, v58, v41, -v56
	s_delay_alu instid0(VALU_DEP_4)
	v_mul_f16_e32 v55, v86, v67
	v_mul_f16_e32 v56, v62, v67
	s_wait_dscnt 0x4
	v_mul_f16_e32 v58, v78, v82
	v_mul_f16_e32 v67, v72, v82
	v_fmac_f16_e32 v55, v62, v42
	v_fma_f16 v42, v86, v42, -v56
	s_wait_loadcnt 0x3
	v_lshrrev_b32_e32 v62, 16, v44
	v_lshrrev_b32_e32 v56, 16, v45
	v_fmac_f16_e32 v58, v72, v43
	v_fma_f16 v43, v78, v43, -v67
	s_delay_alu instid0(VALU_DEP_4)
	v_mul_f16_e32 v70, v90, v62
	v_mul_f16_e32 v62, v63, v62
	s_wait_dscnt 0x3
	v_mul_f16_e32 v67, v79, v56
	v_mul_f16_e32 v56, v75, v56
	v_fmac_f16_e32 v70, v63, v44
	s_wait_loadcnt 0x2
	v_lshrrev_b32_e32 v63, 16, v46
	v_fma_f16 v44, v90, v44, -v62
	v_fmac_f16_e32 v67, v75, v45
	v_fma_f16 v45, v79, v45, -v56
	v_lshrrev_b32_e32 v56, 16, v47
	v_mul_f16_e32 v62, v92, v63
	v_mul_f16_e32 v63, v64, v63
	ds_load_u16 v72, v0
	ds_load_u16 v75, v0 offset:180
	ds_load_u16 v78, v0 offset:360
	;; [unrolled: 1-line block ×7, first 2 shown]
	global_wb scope:SCOPE_SE
	s_wait_loadcnt_dscnt 0x0
	v_mul_f16_e32 v90, v81, v56
	v_fmac_f16_e32 v62, v64, v46
	v_mul_f16_e32 v56, v76, v56
	v_fma_f16 v46, v92, v46, -v63
	s_barrier_signal -1
	v_fmac_f16_e32 v90, v76, v47
	s_barrier_wait -1
	v_lshrrev_b32_e32 v64, 16, v51
	v_lshrrev_b32_e32 v76, 16, v52
	v_fma_f16 v47, v81, v47, -v56
	global_inv scope:SCOPE_SE
	v_mul_f16_e32 v63, v93, v64
	v_mul_f16_e32 v64, v65, v64
	s_delay_alu instid0(VALU_DEP_2) | instskip(SKIP_2) | instid1(VALU_DEP_4)
	v_fmac_f16_e32 v63, v65, v51
	v_lshrrev_b32_e32 v56, 16, v53
	v_mul_f16_e32 v65, v83, v76
	v_fma_f16 v51, v93, v51, -v64
	v_mul_f16_e32 v64, v77, v76
	v_lshrrev_b32_e32 v76, 16, v54
	v_mul_f16_e32 v81, v89, v56
	v_mul_f16_e32 v56, v69, v56
	v_fmac_f16_e32 v65, v77, v52
	v_fma_f16 v52, v83, v52, -v64
	v_mul_f16_e32 v64, v94, v76
	v_fmac_f16_e32 v81, v69, v53
	v_mul_f16_e32 v69, v80, v76
	v_fma_f16 v53, v89, v53, -v56
	v_add_f16_e32 v56, v88, v91
	v_fmac_f16_e32 v64, v80, v54
	v_add_f16_e32 v76, v24, v88
	v_fma_f16 v54, v94, v54, -v69
	v_add_f16_e32 v69, v30, v31
	v_fmac_f16_e32 v24, -0.5, v56
	v_sub_f16_e32 v56, v30, v31
	v_add_f16_e32 v30, v72, v30
	v_add_f16_e32 v76, v76, v91
	v_fmac_f16_e32 v72, -0.5, v69
	v_sub_f16_e32 v69, v88, v91
	v_fmamk_f16 v77, v56, 0xbaee, v24
	v_fmac_f16_e32 v24, 0x3aee, v56
	v_add_f16_e32 v56, v30, v31
	v_add_f16_e32 v30, v87, v68
	v_fmamk_f16 v80, v69, 0x3aee, v72
	v_add_f16_e32 v31, v26, v87
	v_fmac_f16_e32 v72, 0xbaee, v69
	v_add_f16_e32 v69, v32, v33
	v_fmac_f16_e32 v26, -0.5, v30
	v_sub_f16_e32 v30, v32, v33
	v_add_f16_e32 v32, v75, v32
	v_add_f16_e32 v31, v31, v68
	v_fmac_f16_e32 v75, -0.5, v69
	v_sub_f16_e32 v68, v87, v68
	v_fmamk_f16 v69, v30, 0xbaee, v26
	v_fmac_f16_e32 v26, 0x3aee, v30
	v_add_f16_e32 v30, v73, v74
	v_add_f16_e32 v83, v32, v33
	;; [unrolled: 1-line block ×3, first 2 shown]
	v_fmamk_f16 v87, v68, 0x3aee, v75
	v_fmac_f16_e32 v75, 0xbaee, v68
	v_fmac_f16_e32 v25, -0.5, v30
	v_sub_f16_e32 v30, v34, v35
	v_add_f16_e32 v33, v34, v35
	v_add_f16_e32 v34, v78, v34
	;; [unrolled: 1-line block ×3, first 2 shown]
	ds_store_b16 v0, v76
	ds_store_b16 v0, v31 offset:180
	v_fmamk_f16 v68, v30, 0xbaee, v25
	v_fmac_f16_e32 v25, 0x3aee, v30
	v_add_f16_e32 v30, v57, v59
	v_fmac_f16_e32 v78, -0.5, v33
	v_sub_f16_e32 v33, v73, v74
	v_add_f16_e32 v73, v34, v35
	v_add_f16_e32 v34, v23, v57
	v_fmac_f16_e32 v23, -0.5, v30
	v_sub_f16_e32 v30, v36, v37
	v_fmamk_f16 v74, v33, 0x3aee, v78
	v_fmac_f16_e32 v78, 0xbaee, v33
	v_add_f16_e32 v33, v36, v37
	v_add_f16_e32 v35, v79, v36
	v_fmamk_f16 v36, v30, 0xbaee, v23
	v_fmac_f16_e32 v23, 0x3aee, v30
	v_add_f16_e32 v30, v49, v61
	v_fmac_f16_e32 v79, -0.5, v33
	v_sub_f16_e32 v33, v57, v59
	v_add_f16_e32 v57, v35, v37
	v_add_f16_e32 v35, v21, v49
	v_fmac_f16_e32 v21, -0.5, v30
	v_sub_f16_e32 v30, v40, v41
	v_add_f16_e32 v34, v34, v59
	v_fmamk_f16 v59, v33, 0x3aee, v79
	v_fmac_f16_e32 v79, 0xbaee, v33
	v_add_f16_e32 v33, v40, v41
	v_add_f16_e32 v37, v82, v40
	v_fmamk_f16 v40, v30, 0xbaee, v21
	v_fmac_f16_e32 v21, 0x3aee, v30
	v_add_f16_e32 v30, v55, v58
	v_add_f16_e32 v35, v35, v61
	v_fmac_f16_e32 v82, -0.5, v33
	v_sub_f16_e32 v33, v49, v61
	v_add_f16_e32 v61, v37, v41
	v_add_f16_e32 v37, v22, v55
	v_fmac_f16_e32 v22, -0.5, v30
	v_sub_f16_e32 v30, v42, v43
	v_fmamk_f16 v88, v33, 0x3aee, v82
	v_fmac_f16_e32 v82, 0xbaee, v33
	v_add_f16_e32 v33, v42, v43
	v_add_f16_e32 v41, v84, v42
	v_fmamk_f16 v42, v30, 0xbaee, v22
	v_fmac_f16_e32 v22, 0x3aee, v30
	v_add_f16_e32 v30, v70, v67
	v_fmac_f16_e32 v84, -0.5, v33
	v_sub_f16_e32 v33, v55, v58
	v_add_f16_e32 v55, v41, v43
	v_add_f16_e32 v41, v20, v70
	v_fmac_f16_e32 v20, -0.5, v30
	v_sub_f16_e32 v30, v44, v45
	v_add_f16_e32 v37, v37, v58
	v_fmamk_f16 v58, v33, 0x3aee, v84
	v_fmac_f16_e32 v84, 0xbaee, v33
	v_add_f16_e32 v33, v44, v45
	v_add_f16_e32 v43, v85, v44
	v_fmamk_f16 v44, v30, 0xbaee, v20
	v_fmac_f16_e32 v20, 0x3aee, v30
	v_add_f16_e32 v30, v62, v90
	v_add_f16_e32 v41, v41, v67
	v_fmac_f16_e32 v85, -0.5, v33
	v_sub_f16_e32 v33, v70, v67
	v_add_f16_e32 v67, v43, v45
	v_add_f16_e32 v43, v17, v62
	v_fmac_f16_e32 v17, -0.5, v30
	v_sub_f16_e32 v30, v46, v47
	v_fmamk_f16 v70, v33, 0x3aee, v85
	v_fmac_f16_e32 v85, 0xbaee, v33
	v_add_f16_e32 v33, v46, v47
	v_add_f16_e32 v45, v86, v46
	v_fmamk_f16 v46, v30, 0xbaee, v17
	v_fmac_f16_e32 v17, 0x3aee, v30
	v_add_f16_e32 v30, v63, v65
	v_fmac_f16_e32 v86, -0.5, v33
	v_sub_f16_e32 v33, v62, v90
	v_add_f16_e32 v62, v45, v47
	v_add_f16_e32 v45, v18, v63
	v_fmac_f16_e32 v18, -0.5, v30
	v_sub_f16_e32 v30, v51, v52
	v_fmamk_f16 v89, v33, 0x3aee, v86
	v_fmac_f16_e32 v86, 0xbaee, v33
	v_add_f16_e32 v33, v51, v52
	v_add_f16_e32 v47, v50, v51
	v_fmamk_f16 v49, v30, 0xbaee, v18
	v_fmac_f16_e32 v18, 0x3aee, v30
	;; [unrolled: 13-line block ×3, first 2 shown]
	s_wait_alu 0xf1ff
	v_cndmask_b32_e64 v30, 0, 0x708, s0
	v_fmac_f16_e32 v48, -0.5, v33
	v_sub_f16_e32 v33, v81, v64
	v_add_f16_e32 v47, v47, v64
	v_add_f16_e32 v43, v43, v90
	v_add3_u32 v64, 0, v30, v13
	v_mul_u32_u24_e32 v13, 0x708, v29
	v_add_f16_e32 v45, v45, v65
	v_add_f16_e32 v53, v53, v54
	v_fmamk_f16 v54, v33, 0x3aee, v48
	v_fmac_f16_e32 v48, 0xbaee, v33
	v_add3_u32 v65, 0, v13, v39
	ds_store_b16 v0, v69 offset:780
	ds_store_b16 v0, v26 offset:1380
	;; [unrolled: 1-line block ×7, first 2 shown]
	ds_store_b16 v64, v34
	ds_store_b16 v64, v36 offset:600
	ds_store_b16 v64, v23 offset:1200
	;; [unrolled: 1-line block ×8, first 2 shown]
	ds_store_b16 v65, v41
	ds_store_b16 v65, v44 offset:600
	ds_store_b16 v65, v20 offset:1200
	v_lshl_add_u32 v68, v71, 1, 0
	ds_store_b16 v60, v43 offset:3600
	ds_store_b16 v60, v46 offset:4200
	;; [unrolled: 1-line block ×9, first 2 shown]
	global_wb scope:SCOPE_SE
	s_wait_dscnt 0x0
	s_barrier_signal -1
	s_barrier_wait -1
	global_inv scope:SCOPE_SE
	ds_load_u16 v30, v0 offset:3780
	ds_load_u16 v32, v0 offset:3960
	;; [unrolled: 1-line block ×8, first 2 shown]
	ds_load_u16 v17, v0
	ds_load_u16 v18, v0 offset:180
	ds_load_u16 v19, v0 offset:360
	;; [unrolled: 1-line block ×21, first 2 shown]
	global_wb scope:SCOPE_SE
	s_wait_dscnt 0x0
	s_barrier_signal -1
	s_barrier_wait -1
	global_inv scope:SCOPE_SE
	ds_store_b16 v0, v56
	ds_store_b16 v0, v83 offset:180
	ds_store_b16 v0, v87 offset:780
	ds_store_b16 v0, v75 offset:1380
	ds_store_b16 v0, v80 offset:600
	ds_store_b16 v0, v73 offset:360
	ds_store_b16 v0, v72 offset:1200
	ds_store_b16 v0, v74 offset:960
	ds_store_b16 v0, v78 offset:1560
	ds_store_b16 v64, v57
	ds_store_b16 v64, v59 offset:600
	ds_store_b16 v64, v79 offset:1200
	ds_store_b16 v0, v61 offset:1920
	ds_store_b16 v0, v88 offset:2520
	ds_store_b16 v0, v55 offset:2100
	ds_store_b16 v0, v58 offset:2700
	ds_store_b16 v0, v82 offset:3120
	ds_store_b16 v0, v84 offset:3300
	;; [unrolled: 9-line block ×3, first 2 shown]
	ds_store_b16 v68, v53 offset:3600
	ds_store_b16 v68, v54 offset:4200
	ds_store_b16 v68, v48 offset:4800
	global_wb scope:SCOPE_SE
	s_wait_dscnt 0x0
	s_barrier_signal -1
	s_barrier_wait -1
	global_inv scope:SCOPE_SE
	s_and_saveexec_b32 s0, vcc_lo
	s_cbranch_execz .LBB0_15
; %bb.14:
	v_dual_mov_b32 v51, v6 :: v_dual_lshlrev_b32 v50, 1, v38
	v_dual_mov_b32 v53, v6 :: v_dual_lshlrev_b32 v52, 1, v28
	;; [unrolled: 1-line block ×3, first 2 shown]
	s_delay_alu instid0(VALU_DEP_3) | instskip(SKIP_1) | instid1(VALU_DEP_4)
	v_lshlrev_b64_e32 v[50:51], 2, v[50:51]
	v_dual_mov_b32 v55, v6 :: v_dual_lshlrev_b32 v54, 1, v14
	v_lshlrev_b64_e32 v[52:53], 2, v[52:53]
	s_delay_alu instid0(VALU_DEP_4)
	v_lshlrev_b64_e32 v[27:28], 2, v[27:28]
	v_dual_mov_b32 v57, v6 :: v_dual_add_nc_u32 v56, 0x384, v5
	v_add_co_u32 v50, vcc_lo, s8, v50
	s_wait_alu 0xfffd
	v_add_co_ci_u32_e32 v51, vcc_lo, s9, v51, vcc_lo
	v_add_co_u32 v52, vcc_lo, s8, v52
	s_wait_alu 0xfffd
	v_add_co_ci_u32_e32 v53, vcc_lo, s9, v53, vcc_lo
	global_load_b64 v[50:51], v[50:51], off offset:3588
	v_add_co_u32 v27, vcc_lo, s8, v27
	global_load_b64 v[52:53], v[52:53], off offset:3588
	s_wait_alu 0xfffd
	v_add_co_ci_u32_e32 v28, vcc_lo, s9, v28, vcc_lo
	v_lshlrev_b64_e32 v[54:55], 2, v[54:55]
	v_lshlrev_b64_e32 v[56:57], 2, v[56:57]
	v_add_nc_u32_e32 v5, 0x2d0, v5
	s_clause 0x2
	global_load_b64 v[27:28], v[27:28], off offset:3588
	global_load_b64 v[11:12], v[11:12], off offset:3588
	;; [unrolled: 1-line block ×3, first 2 shown]
	v_add_co_u32 v54, vcc_lo, s8, v54
	s_wait_alu 0xfffd
	v_add_co_ci_u32_e32 v55, vcc_lo, s9, v55, vcc_lo
	v_lshlrev_b64_e32 v[58:59], 2, v[5:6]
	v_add_co_u32 v56, vcc_lo, s8, v56
	global_load_b64 v[54:55], v[54:55], off offset:3588
	s_wait_alu 0xfffd
	v_add_co_ci_u32_e32 v57, vcc_lo, s9, v57, vcc_lo
	v_add_co_u32 v58, vcc_lo, s8, v58
	v_lshlrev_b32_e32 v5, 1, v16
	global_load_b64 v[56:57], v[56:57], off offset:3588
	s_wait_alu 0xfffd
	v_add_co_ci_u32_e32 v59, vcc_lo, s9, v59, vcc_lo
	v_mul_lo_u32 v14, s2, v4
	v_lshlrev_b64_e32 v[60:61], 2, v[5:6]
	v_mul_lo_u32 v5, s3, v3
	global_load_b64 v[58:59], v[58:59], off offset:3588
	v_mad_co_u64_u32 v[3:4], null, s2, v3, 0
	v_lshlrev_b64_e32 v[1:2], 2, v[1:2]
	v_add_co_u32 v60, vcc_lo, s8, v60
	s_wait_alu 0xfffd
	v_add_co_ci_u32_e32 v61, vcc_lo, s9, v61, vcc_lo
	s_clause 0x1
	global_load_b64 v[7:8], v[7:8], off offset:3588
	global_load_b64 v[60:61], v[60:61], off offset:3588
	v_add3_u32 v4, v4, v14, v5
	ds_load_u16 v16, v0 offset:2700
	ds_load_u16 v38, v0 offset:2520
	ds_load_u16 v62, v0 offset:2340
	ds_load_u16 v63, v0 offset:2160
	ds_load_u16 v64, v0 offset:1980
	ds_load_u16 v65, v0 offset:1800
	ds_load_u16 v66, v0 offset:1620
	ds_load_u16 v67, v0 offset:1440
	ds_load_u16 v68, v0 offset:4140
	ds_load_u16 v69, v0 offset:3960
	ds_load_u16 v70, v0 offset:3780
	ds_load_u16 v71, v0 offset:3600
	ds_load_u16 v72, v0 offset:3420
	ds_load_u16 v73, v0 offset:3240
	ds_load_u16 v74, v0 offset:3060
	ds_load_u16 v75, v0 offset:2880
	v_add_nc_u32_e32 v48, 0x5a, v15
	ds_load_u16 v5, v0 offset:5220
	ds_load_u16 v14, v0 offset:5040
	;; [unrolled: 1-line block ×6, first 2 shown]
	v_lshlrev_b64_e32 v[3:4], 2, v[3:4]
	v_mul_hi_u32 v81, 0x91a2b3c5, v15
	v_add_nc_u32_e32 v82, 0xb4, v15
	s_delay_alu instid0(VALU_DEP_3) | instskip(SKIP_1) | instid1(VALU_DEP_4)
	v_add_co_u32 v3, vcc_lo, s6, v3
	s_wait_alu 0xfffd
	v_add_co_ci_u32_e32 v4, vcc_lo, s7, v4, vcc_lo
	s_delay_alu instid0(VALU_DEP_2) | instskip(SKIP_1) | instid1(VALU_DEP_2)
	v_add_co_u32 v1, vcc_lo, v3, v1
	s_wait_alu 0xfffd
	v_add_co_ci_u32_e32 v2, vcc_lo, v4, v2, vcc_lo
	s_wait_loadcnt 0x9
	v_lshrrev_b32_e32 v84, 16, v50
	s_wait_dscnt 0x9
	s_delay_alu instid0(VALU_DEP_1) | instskip(SKIP_3) | instid1(VALU_DEP_3)
	v_mul_f16_e32 v4, v72, v84
	v_mul_f16_e32 v85, v47, v84
	s_wait_loadcnt 0x7
	v_lshrrev_b32_e32 v92, 16, v27
	v_fmac_f16_e32 v4, v47, v50
	v_mov_b32_e32 v47, v6
	v_mul_hi_u32 v76, 0x91a2b3c5, v48
	v_fma_f16 v72, v50, v72, -v85
	ds_load_u16 v84, v0 offset:1260
	ds_load_u16 v85, v0 offset:1080
	;; [unrolled: 1-line block ×7, first 2 shown]
	ds_load_u16 v91, v0
	v_mul_hi_u32 v0, 0x91a2b3c5, v82
	v_lshrrev_b32_e32 v50, 16, v52
	v_lshrrev_b32_e32 v76, 9, v76
	s_delay_alu instid0(VALU_DEP_1) | instskip(NEXT) | instid1(VALU_DEP_1)
	v_mul_u32_u24_e32 v83, 0x384, v76
	v_sub_nc_u32_e32 v48, v48, v83
	v_lshrrev_b32_e32 v83, 16, v51
	s_delay_alu instid0(VALU_DEP_1) | instskip(SKIP_2) | instid1(VALU_DEP_2)
	v_mul_f16_e32 v3, v49, v83
	s_wait_dscnt 0xd
	v_mul_f16_e32 v83, v5, v83
	v_fma_f16 v3, v51, v5, -v3
	v_lshrrev_b32_e32 v5, 9, v81
	s_delay_alu instid0(VALU_DEP_3) | instskip(SKIP_1) | instid1(VALU_DEP_3)
	v_fmac_f16_e32 v83, v49, v51
	v_lshrrev_b32_e32 v51, 16, v53
	v_mul_u32_u24_e32 v49, 0x384, v5
	v_mad_u32_u24 v5, 0xa8c, v76, v48
	v_mul_f16_e32 v48, v45, v50
	v_lshrrev_b32_e32 v76, 9, v0
	v_mul_f16_e32 v50, v73, v50
	v_sub_nc_u32_e32 v0, v15, v49
	v_mul_f16_e32 v49, v46, v51
	s_wait_dscnt 0xc
	v_mul_f16_e32 v51, v14, v51
	v_fma_f16 v73, v52, v73, -v48
	v_fmac_f16_e32 v50, v45, v52
	v_lshlrev_b32_e32 v0, 2, v0
	v_lshrrev_b32_e32 v45, 16, v28
	v_fmac_f16_e32 v51, v46, v53
	v_mul_f16_e32 v46, v43, v92
	v_fma_f16 v14, v53, v14, -v49
	v_add_co_u32 v48, vcc_lo, v1, v0
	v_mul_f16_e32 v0, v44, v45
	v_mul_f16_e32 v52, v74, v92
	v_fma_f16 v53, v27, v74, -v46
	s_wait_loadcnt 0x4
	v_lshrrev_b32_e32 v74, 16, v54
	s_wait_dscnt 0xb
	v_mul_f16_e32 v45, v77, v45
	v_fma_f16 v77, v28, v77, -v0
	v_lshrrev_b32_e32 v0, 16, v55
	v_fmac_f16_e32 v52, v43, v27
	v_mul_f16_e32 v43, v41, v74
	v_fmac_f16_e32 v45, v44, v28
	v_mul_f16_e32 v74, v75, v74
	v_mul_f16_e32 v44, v42, v0
	s_wait_dscnt 0xa
	v_mul_f16_e32 v92, v78, v0
	v_fma_f16 v43, v54, v75, -v43
	s_wait_loadcnt 0x3
	v_lshrrev_b32_e32 v75, 16, v56
	v_lshrrev_b32_e32 v0, 16, v57
	v_fma_f16 v44, v55, v78, -v44
	v_fmac_f16_e32 v74, v41, v54
	v_fmac_f16_e32 v92, v42, v55
	v_mul_f16_e32 v41, v37, v75
	s_wait_loadcnt 0x2
	v_lshrrev_b32_e32 v42, 16, v58
	v_lshrrev_b32_e32 v54, 16, v59
	v_mul_f16_e32 v55, v40, v0
	v_mul_f16_e32 v75, v16, v75
	s_wait_dscnt 0x9
	v_mul_f16_e32 v78, v79, v0
	v_fma_f16 v16, v56, v16, -v41
	v_lshrrev_b32_e32 v41, 16, v11
	v_fma_f16 v55, v57, v79, -v55
	v_lshrrev_b32_e32 v0, 16, v12
	v_fmac_f16_e32 v75, v37, v56
	v_mul_f16_e32 v37, v36, v42
	v_fmac_f16_e32 v78, v40, v57
	v_lshrrev_b32_e32 v40, 16, v9
	v_mul_f16_e32 v57, v39, v54
	v_mul_f16_e32 v42, v38, v42
	s_wait_dscnt 0x8
	v_mul_f16_e32 v54, v80, v54
	v_lshrrev_b32_e32 v56, 16, v10
	v_fma_f16 v37, v58, v38, -v37
	s_wait_loadcnt 0x1
	v_lshrrev_b32_e32 v38, 16, v7
	v_fma_f16 v57, v59, v80, -v57
	v_lshrrev_b32_e32 v79, 16, v8
	v_fmac_f16_e32 v42, v36, v58
	v_fmac_f16_e32 v54, v39, v59
	v_mul_f16_e32 v39, v33, v41
	s_wait_loadcnt 0x0
	v_lshrrev_b32_e32 v58, 16, v61
	v_mul_f16_e32 v59, v32, v0
	v_mul_f16_e32 v41, v63, v41
	;; [unrolled: 1-line block ×4, first 2 shown]
	v_lshrrev_b32_e32 v36, 16, v60
	v_fma_f16 v39, v11, v63, -v39
	v_fma_f16 v59, v12, v69, -v59
	v_mul_f16_e32 v63, v30, v56
	v_mul_f16_e32 v40, v64, v40
	;; [unrolled: 1-line block ×3, first 2 shown]
	v_fmac_f16_e32 v41, v33, v11
	v_mul_f16_e32 v11, v34, v38
	v_fmac_f16_e32 v80, v32, v12
	v_mul_f16_e32 v12, v35, v79
	v_mul_f16_e32 v32, v65, v38
	;; [unrolled: 1-line block ×5, first 2 shown]
	v_fma_f16 v64, v9, v64, -v0
	v_add_f16_e32 v0, v72, v3
	v_mul_f16_e32 v38, v26, v36
	v_mul_f16_e32 v36, v62, v36
	v_fma_f16 v63, v10, v70, -v63
	v_fmac_f16_e32 v40, v31, v9
	v_fmac_f16_e32 v56, v30, v10
	v_fma_f16 v9, v7, v65, -v11
	v_fma_f16 v10, v8, v71, -v12
	v_fmac_f16_e32 v32, v34, v7
	v_fmac_f16_e32 v33, v35, v8
	v_add_f16_e32 v7, v66, v72
	v_add_f16_e32 v11, v4, v83
	;; [unrolled: 1-line block ×3, first 2 shown]
	v_fmac_f16_e32 v58, v24, v61
	v_add_f16_e32 v24, v74, v92
	v_fma_f16 v0, -0.5, v0, v66
	s_wait_dscnt 0x5
	v_add_f16_e32 v66, v86, v16
	v_add_f16_e32 v30, v29, v4
	;; [unrolled: 1-line block ×4, first 2 shown]
	v_fma_f16 v38, v60, v62, -v38
	v_add_f16_e32 v62, v43, v44
	v_sub_f16_e32 v8, v4, v83
	v_sub_f16_e32 v12, v72, v3
	v_add_f16_e32 v65, v50, v51
	v_sub_f16_e32 v70, v73, v14
	v_sub_f16_e32 v72, v52, v45
	v_add_f16_e32 v79, v52, v45
	v_add_f16_e32 v52, v23, v52
	v_fma_f16 v68, v61, v68, -v69
	v_sub_f16_e32 v69, v74, v92
	v_fmac_f16_e32 v36, v26, v60
	v_add_f16_e32 v26, v85, v43
	v_add_f16_e32 v60, v22, v74
	;; [unrolled: 1-line block ×3, first 2 shown]
	v_sub_f16_e32 v74, v75, v78
	v_add_f16_e32 v4, v7, v3
	v_add_f16_e32 v93, v75, v78
	v_sub_f16_e32 v16, v16, v55
	v_add_f16_e32 v75, v21, v75
	v_fma_f16 v3, -0.5, v11, v29
	v_add_f16_e32 v11, v37, v57
	v_add_f16_e32 v35, v35, v14
	;; [unrolled: 1-line block ×3, first 2 shown]
	v_fma_f16 v22, -0.5, v24, v22
	v_add_f16_e32 v24, v9, v10
	v_add_f16_e32 v55, v66, v55
	;; [unrolled: 1-line block ×5, first 2 shown]
	v_fma_f16 v30, -0.5, v31, v67
	v_fma_f16 v67, -0.5, v71, v84
	;; [unrolled: 1-line block ×3, first 2 shown]
	v_sub_f16_e32 v84, v32, v33
	s_wait_dscnt 0x0
	v_add_f16_e32 v85, v91, v9
	v_add_f16_e32 v32, v17, v32
	v_sub_f16_e32 v34, v50, v51
	v_add_f16_e32 v50, v25, v50
	v_sub_f16_e32 v53, v53, v77
	v_sub_f16_e32 v43, v43, v44
	;; [unrolled: 1-line block ×3, first 2 shown]
	v_add_f16_e32 v31, v87, v37
	v_sub_f16_e32 v37, v37, v57
	v_fma_f16 v25, -0.5, v65, v25
	v_fma_f16 v23, -0.5, v79, v23
	v_add_f16_e32 v45, v52, v45
	v_sub_f16_e32 v52, v40, v56
	v_add_f16_e32 v26, v26, v44
	v_add_f16_e32 v44, v40, v56
	;; [unrolled: 1-line block ×3, first 2 shown]
	v_fma_f16 v61, -0.5, v61, v86
	v_sub_f16_e32 v9, v9, v10
	v_add_f16_e32 v75, v75, v78
	v_fma_f16 v78, -0.5, v11, v87
	v_fma_f16 v14, -0.5, v14, v20
	v_add_f16_e32 v11, v38, v68
	v_fma_f16 v24, -0.5, v24, v91
	v_fma_f16 v17, -0.5, v66, v17
	v_add_f16_e32 v42, v20, v42
	v_add_f16_e32 v65, v39, v59
	;; [unrolled: 1-line block ×9, first 2 shown]
	v_fmamk_f16 v33, v8, 0xbaee, v0
	v_fmac_f16_e32 v0, 0x3aee, v8
	v_fmamk_f16 v56, v34, 0xbaee, v30
	v_fmac_f16_e32 v30, 0x3aee, v34
	;; [unrolled: 2-line block ×9, first 2 shown]
	v_fma_f16 v37, -0.5, v11, v88
	v_fmamk_f16 v8, v84, 0xbaee, v24
	v_fmac_f16_e32 v24, 0x3aee, v84
	v_fmamk_f16 v11, v9, 0x3aee, v17
	v_fmac_f16_e32 v17, 0xbaee, v9
	v_lshlrev_b64_e32 v[27:28], 2, v[5:6]
	s_wait_alu 0xfffd
	v_add_co_ci_u32_e32 v49, vcc_lo, 0, v2, vcc_lo
	v_add_f16_e32 v50, v50, v51
	v_sub_f16_e32 v51, v41, v80
	v_sub_f16_e32 v39, v39, v59
	v_add_f16_e32 v41, v19, v41
	v_add_f16_e32 v83, v90, v64
	v_sub_f16_e32 v64, v64, v63
	v_fma_f16 v21, -0.5, v93, v21
	v_add_f16_e32 v31, v31, v57
	v_add_f16_e32 v20, v42, v54
	v_sub_f16_e32 v42, v36, v58
	v_add_f16_e32 v57, v36, v58
	v_add_f16_e32 v36, v13, v36
	v_fma_f16 v65, -0.5, v65, v89
	v_add_f16_e32 v59, v71, v59
	v_fma_f16 v71, -0.5, v77, v19
	v_fma_f16 v19, -0.5, v79, v90
	;; [unrolled: 1-line block ×3, first 2 shown]
	v_pack_b32_f16 v9, v32, v10
	v_pack_b32_f16 v10, v17, v24
	;; [unrolled: 1-line block ×3, first 2 shown]
	v_mul_u32_u24_e32 v81, 0x384, v76
	v_add_nc_u32_e32 v46, 0x384, v5
	v_add_nc_u32_e32 v5, 0x708, v5
	v_add_f16_e32 v54, v88, v38
	v_sub_f16_e32 v38, v38, v68
	v_fmamk_f16 v66, v72, 0xbaee, v67
	v_fmac_f16_e32 v67, 0x3aee, v72
	v_fmamk_f16 v72, v16, 0x3aee, v21
	v_fmac_f16_e32 v21, 0xbaee, v16
	v_fma_f16 v57, -0.5, v57, v13
	v_add_f16_e32 v36, v36, v58
	v_fmamk_f16 v58, v51, 0xbaee, v65
	v_fmac_f16_e32 v65, 0x3aee, v51
	v_fmamk_f16 v51, v39, 0x3aee, v71
	v_fmac_f16_e32 v71, 0xbaee, v39
	v_fmamk_f16 v16, v52, 0xbaee, v19
	v_fmac_f16_e32 v19, 0x3aee, v52
	v_fmamk_f16 v39, v64, 0x3aee, v18
	v_fmac_f16_e32 v18, 0xbaee, v64
	s_clause 0x2
	global_store_b32 v[48:49], v9, off
	global_store_b32 v[48:49], v10, off offset:3600
	global_store_b32 v[48:49], v8, off offset:7200
	v_add_co_u32 v8, vcc_lo, v1, v27
	v_add_f16_e32 v63, v83, v63
	s_wait_alu 0xfffd
	v_add_co_ci_u32_e32 v9, vcc_lo, v2, v28, vcc_lo
	v_add_nc_u32_e32 v28, 0x10e, v15
	v_fmamk_f16 v44, v12, 0x3aee, v3
	v_fmac_f16_e32 v3, 0xbaee, v12
	v_fmamk_f16 v24, v38, 0x3aee, v57
	v_fmac_f16_e32 v57, 0xbaee, v38
	v_lshlrev_b64_e32 v[12:13], 2, v[5:6]
	v_pack_b32_f16 v38, v18, v19
	v_mov_b32_e32 v19, v6
	v_sub_nc_u32_e32 v5, v82, v81
	v_lshlrev_b64_e32 v[10:11], 2, v[46:47]
	v_pack_b32_f16 v27, v40, v63
	v_mul_hi_u32 v40, 0x91a2b3c5, v28
	v_pack_b32_f16 v39, v39, v16
	v_mad_u32_u24 v5, 0xa8c, v76, v5
	v_add_f16_e32 v41, v41, v80
	v_add_co_u32 v10, vcc_lo, v1, v10
	s_wait_alu 0xfffd
	v_add_co_ci_u32_e32 v11, vcc_lo, v2, v11, vcc_lo
	v_add_co_u32 v12, vcc_lo, v1, v12
	v_add_nc_u32_e32 v18, 0x384, v5
	v_lshrrev_b32_e32 v40, 9, v40
	s_wait_alu 0xfffd
	v_add_co_ci_u32_e32 v13, vcc_lo, v2, v13, vcc_lo
	v_lshlrev_b64_e32 v[16:17], 2, v[5:6]
	s_clause 0x2
	global_store_b32 v[8:9], v27, off
	global_store_b32 v[10:11], v38, off
	global_store_b32 v[12:13], v39, off
	v_lshlrev_b64_e32 v[8:9], 2, v[18:19]
	v_add_nc_u32_e32 v5, 0x708, v5
	v_mul_u32_u24_e32 v18, 0x384, v40
	v_add_nc_u32_e32 v38, 0x168, v15
	v_add_co_u32 v10, vcc_lo, v1, v16
	s_delay_alu instid0(VALU_DEP_4) | instskip(NEXT) | instid1(VALU_DEP_4)
	v_lshlrev_b64_e32 v[12:13], 2, v[5:6]
	v_sub_nc_u32_e32 v5, v28, v18
	s_wait_alu 0xfffd
	v_add_co_ci_u32_e32 v11, vcc_lo, v2, v17, vcc_lo
	v_add_co_u32 v8, vcc_lo, v1, v8
	s_delay_alu instid0(VALU_DEP_3)
	v_mad_u32_u24 v5, 0xa8c, v40, v5
	v_mul_hi_u32 v40, 0x91a2b3c5, v38
	s_wait_alu 0xfffd
	v_add_co_ci_u32_e32 v9, vcc_lo, v2, v9, vcc_lo
	v_pack_b32_f16 v27, v41, v59
	v_add_co_u32 v12, vcc_lo, v1, v12
	v_dual_mov_b32 v17, v6 :: v_dual_add_nc_u32 v16, 0x384, v5
	v_pack_b32_f16 v28, v71, v65
	s_wait_alu 0xfffd
	v_add_co_ci_u32_e32 v13, vcc_lo, v2, v13, vcc_lo
	v_pack_b32_f16 v39, v51, v58
	v_lshlrev_b64_e32 v[18:19], 2, v[5:6]
	s_clause 0x2
	global_store_b32 v[10:11], v27, off
	global_store_b32 v[8:9], v28, off
	;; [unrolled: 1-line block ×3, first 2 shown]
	v_lshlrev_b64_e32 v[8:9], 2, v[16:17]
	v_add_nc_u32_e32 v5, 0x708, v5
	v_lshrrev_b32_e32 v16, 9, v40
	v_add_co_u32 v10, vcc_lo, v1, v18
	v_add_f16_e32 v54, v54, v68
	s_delay_alu instid0(VALU_DEP_4) | instskip(NEXT) | instid1(VALU_DEP_4)
	v_lshlrev_b64_e32 v[12:13], 2, v[5:6]
	v_mul_u32_u24_e32 v5, 0x384, v16
	v_fmamk_f16 v32, v42, 0xbaee, v37
	v_fmac_f16_e32 v37, 0x3aee, v42
	s_wait_alu 0xfffd
	v_add_co_ci_u32_e32 v11, vcc_lo, v2, v19, vcc_lo
	v_sub_nc_u32_e32 v5, v38, v5
	v_add_nc_u32_e32 v19, 0x1c2, v15
	v_add_co_u32 v8, vcc_lo, v1, v8
	s_wait_alu 0xfffd
	v_add_co_ci_u32_e32 v9, vcc_lo, v2, v9, vcc_lo
	v_pack_b32_f16 v17, v36, v54
	v_add_co_u32 v12, vcc_lo, v1, v12
	v_mad_u32_u24 v5, 0xa8c, v16, v5
	v_pack_b32_f16 v18, v57, v37
	v_mul_hi_u32 v16, 0x91a2b3c5, v19
	s_wait_alu 0xfffd
	v_add_co_ci_u32_e32 v13, vcc_lo, v2, v13, vcc_lo
	v_pack_b32_f16 v24, v24, v32
	s_clause 0x2
	global_store_b32 v[10:11], v17, off
	global_store_b32 v[8:9], v18, off
	;; [unrolled: 1-line block ×3, first 2 shown]
	v_dual_mov_b32 v11, v6 :: v_dual_add_nc_u32 v10, 0x384, v5
	v_add_nc_u32_e32 v18, 0x21c, v15
	v_lshlrev_b64_e32 v[8:9], 2, v[5:6]
	v_add_nc_u32_e32 v5, 0x708, v5
	v_lshrrev_b32_e32 v16, 9, v16
	v_lshlrev_b64_e32 v[10:11], 2, v[10:11]
	v_pack_b32_f16 v17, v20, v31
	v_mul_hi_u32 v20, 0x91a2b3c5, v18
	v_add_co_u32 v8, vcc_lo, v1, v8
	v_lshlrev_b64_e32 v[12:13], 2, v[5:6]
	v_mul_u32_u24_e32 v5, 0x384, v16
	s_wait_alu 0xfffd
	v_add_co_ci_u32_e32 v9, vcc_lo, v2, v9, vcc_lo
	v_add_co_u32 v10, vcc_lo, v1, v10
	s_wait_alu 0xfffd
	v_add_co_ci_u32_e32 v11, vcc_lo, v2, v11, vcc_lo
	v_sub_nc_u32_e32 v5, v19, v5
	v_add_co_u32 v12, vcc_lo, v1, v12
	v_lshrrev_b32_e32 v20, 9, v20
	v_pack_b32_f16 v14, v14, v78
	s_wait_alu 0xfffd
	v_add_co_ci_u32_e32 v13, vcc_lo, v2, v13, vcc_lo
	v_pack_b32_f16 v19, v29, v74
	v_mad_u32_u24 v5, 0xa8c, v16, v5
	s_clause 0x2
	global_store_b32 v[8:9], v17, off
	global_store_b32 v[10:11], v14, off
	;; [unrolled: 1-line block ×3, first 2 shown]
	v_mul_u32_u24_e32 v12, 0x384, v20
	v_mov_b32_e32 v11, v6
	v_lshlrev_b64_e32 v[8:9], 2, v[5:6]
	v_add_nc_u32_e32 v10, 0x384, v5
	v_add_nc_u32_e32 v5, 0x708, v5
	v_sub_nc_u32_e32 v14, v18, v12
	v_mov_b32_e32 v17, v6
	v_pack_b32_f16 v27, v21, v61
	v_lshlrev_b64_e32 v[10:11], 2, v[10:11]
	v_lshlrev_b64_e32 v[12:13], 2, v[5:6]
	v_mad_u32_u24 v5, 0xa8c, v20, v14
	v_add_nc_u32_e32 v14, 0x276, v15
	v_add_co_u32 v8, vcc_lo, v1, v8
	s_wait_alu 0xfffd
	v_add_co_ci_u32_e32 v9, vcc_lo, v2, v9, vcc_lo
	s_delay_alu instid0(VALU_DEP_3)
	v_mul_hi_u32 v20, 0x91a2b3c5, v14
	v_add_nc_u32_e32 v16, 0x384, v5
	v_lshlrev_b64_e32 v[18:19], 2, v[5:6]
	v_add_nc_u32_e32 v5, 0x708, v5
	v_add_co_u32 v10, vcc_lo, v1, v10
	s_wait_alu 0xfffd
	v_add_co_ci_u32_e32 v11, vcc_lo, v2, v11, vcc_lo
	v_lshrrev_b32_e32 v29, 9, v20
	v_lshlrev_b64_e32 v[20:21], 2, v[5:6]
	v_add_co_u32 v12, vcc_lo, v1, v12
	v_lshlrev_b64_e32 v[16:17], 2, v[16:17]
	s_delay_alu instid0(VALU_DEP_4) | instskip(SKIP_3) | instid1(VALU_DEP_3)
	v_mul_u32_u24_e32 v5, 0x384, v29
	s_wait_alu 0xfffd
	v_add_co_ci_u32_e32 v13, vcc_lo, v2, v13, vcc_lo
	v_add_co_u32 v18, vcc_lo, v1, v18
	v_sub_nc_u32_e32 v5, v14, v5
	v_add_nc_u32_e32 v14, 0x2d0, v15
	v_add_f16_e32 v60, v60, v92
	s_wait_alu 0xfffd
	v_add_co_ci_u32_e32 v19, vcc_lo, v2, v19, vcc_lo
	v_add_co_u32 v16, vcc_lo, v1, v16
	v_mad_u32_u24 v5, 0xa8c, v29, v5
	v_mul_hi_u32 v29, 0x91a2b3c5, v14
	s_wait_alu 0xfffd
	v_add_co_ci_u32_e32 v17, vcc_lo, v2, v17, vcc_lo
	v_pack_b32_f16 v24, v75, v55
	v_pack_b32_f16 v26, v60, v26
	v_add_co_u32 v20, vcc_lo, v1, v20
	v_pack_b32_f16 v22, v22, v62
	v_pack_b32_f16 v28, v72, v43
	s_wait_alu 0xfffd
	v_add_co_ci_u32_e32 v21, vcc_lo, v2, v21, vcc_lo
	v_pack_b32_f16 v31, v69, v53
	s_clause 0x5
	global_store_b32 v[8:9], v24, off
	global_store_b32 v[10:11], v27, off
	;; [unrolled: 1-line block ×6, first 2 shown]
	v_lshrrev_b32_e32 v16, 9, v29
	v_lshlrev_b64_e32 v[8:9], 2, v[5:6]
	v_add_nc_u32_e32 v10, 0x384, v5
	v_add_nc_u32_e32 v5, 0x708, v5
	;; [unrolled: 1-line block ×3, first 2 shown]
	v_mul_u32_u24_e32 v17, 0x384, v16
	v_mov_b32_e32 v11, v6
	v_add_co_u32 v8, vcc_lo, v1, v8
	v_lshlrev_b64_e32 v[12:13], 2, v[5:6]
	s_delay_alu instid0(VALU_DEP_4)
	v_sub_nc_u32_e32 v5, v14, v17
	v_mov_b32_e32 v17, v6
	v_mul_hi_u32 v14, 0x91a2b3c5, v18
	v_lshlrev_b64_e32 v[10:11], 2, v[10:11]
	s_wait_alu 0xfffd
	v_add_co_ci_u32_e32 v9, vcc_lo, v2, v9, vcc_lo
	v_mad_u32_u24 v5, 0xa8c, v16, v5
	v_pack_b32_f16 v19, v45, v73
	v_pack_b32_f16 v20, v23, v67
	v_add_co_u32 v10, vcc_lo, v1, v10
	v_lshrrev_b32_e32 v21, 9, v14
	s_wait_alu 0xfffd
	v_add_co_ci_u32_e32 v11, vcc_lo, v2, v11, vcc_lo
	v_add_co_u32 v12, vcc_lo, v1, v12
	v_add_nc_u32_e32 v16, 0x384, v5
	v_mul_u32_u24_e32 v23, 0x384, v21
	s_wait_alu 0xfffd
	v_add_co_ci_u32_e32 v13, vcc_lo, v2, v13, vcc_lo
	v_pack_b32_f16 v22, v70, v66
	v_lshlrev_b64_e32 v[14:15], 2, v[5:6]
	s_clause 0x2
	global_store_b32 v[8:9], v19, off
	global_store_b32 v[10:11], v20, off
	;; [unrolled: 1-line block ×3, first 2 shown]
	v_lshlrev_b64_e32 v[8:9], 2, v[16:17]
	v_add_nc_u32_e32 v5, 0x708, v5
	v_sub_nc_u32_e32 v16, v18, v23
	v_add_co_u32 v10, vcc_lo, v1, v14
	s_wait_alu 0xfffd
	v_add_co_ci_u32_e32 v11, vcc_lo, v2, v15, vcc_lo
	v_lshlrev_b64_e32 v[12:13], 2, v[5:6]
	v_mad_u32_u24 v5, 0xa8c, v21, v16
	v_add_co_u32 v8, vcc_lo, v1, v8
	s_wait_alu 0xfffd
	v_add_co_ci_u32_e32 v9, vcc_lo, v2, v9, vcc_lo
	s_delay_alu instid0(VALU_DEP_3) | instskip(SKIP_3) | instid1(VALU_DEP_4)
	v_add_nc_u32_e32 v16, 0x384, v5
	v_lshlrev_b64_e32 v[14:15], 2, v[5:6]
	v_add_nc_u32_e32 v5, 0x708, v5
	v_add_co_u32 v12, vcc_lo, v1, v12
	v_lshlrev_b64_e32 v[16:17], 2, v[16:17]
	s_wait_alu 0xfffd
	v_add_co_ci_u32_e32 v13, vcc_lo, v2, v13, vcc_lo
	v_add_co_u32 v14, vcc_lo, v1, v14
	v_pack_b32_f16 v21, v7, v4
	v_lshlrev_b64_e32 v[4:5], 2, v[5:6]
	s_wait_alu 0xfffd
	v_add_co_ci_u32_e32 v15, vcc_lo, v2, v15, vcc_lo
	v_pack_b32_f16 v18, v50, v35
	v_add_co_u32 v6, vcc_lo, v1, v16
	v_pack_b32_f16 v19, v25, v30
	v_pack_b32_f16 v20, v34, v56
	s_wait_alu 0xfffd
	v_add_co_ci_u32_e32 v7, vcc_lo, v2, v17, vcc_lo
	v_pack_b32_f16 v3, v3, v0
	v_add_co_u32 v0, vcc_lo, v1, v4
	s_wait_alu 0xfffd
	v_add_co_ci_u32_e32 v1, vcc_lo, v2, v5, vcc_lo
	v_pack_b32_f16 v2, v44, v33
	s_clause 0x5
	global_store_b32 v[10:11], v18, off
	global_store_b32 v[8:9], v19, off
	;; [unrolled: 1-line block ×6, first 2 shown]
.LBB0_15:
	s_nop 0
	s_sendmsg sendmsg(MSG_DEALLOC_VGPRS)
	s_endpgm
	.section	.rodata,"a",@progbits
	.p2align	6, 0x0
	.amdhsa_kernel fft_rtc_back_len2700_factors_3_10_10_3_3_wgs_90_tpt_90_halfLds_half_op_CI_CI_unitstride_sbrr_dirReg
		.amdhsa_group_segment_fixed_size 0
		.amdhsa_private_segment_fixed_size 0
		.amdhsa_kernarg_size 104
		.amdhsa_user_sgpr_count 2
		.amdhsa_user_sgpr_dispatch_ptr 0
		.amdhsa_user_sgpr_queue_ptr 0
		.amdhsa_user_sgpr_kernarg_segment_ptr 1
		.amdhsa_user_sgpr_dispatch_id 0
		.amdhsa_user_sgpr_private_segment_size 0
		.amdhsa_wavefront_size32 1
		.amdhsa_uses_dynamic_stack 0
		.amdhsa_enable_private_segment 0
		.amdhsa_system_sgpr_workgroup_id_x 1
		.amdhsa_system_sgpr_workgroup_id_y 0
		.amdhsa_system_sgpr_workgroup_id_z 0
		.amdhsa_system_sgpr_workgroup_info 0
		.amdhsa_system_vgpr_workitem_id 0
		.amdhsa_next_free_vgpr 112
		.amdhsa_next_free_sgpr 39
		.amdhsa_reserve_vcc 1
		.amdhsa_float_round_mode_32 0
		.amdhsa_float_round_mode_16_64 0
		.amdhsa_float_denorm_mode_32 3
		.amdhsa_float_denorm_mode_16_64 3
		.amdhsa_fp16_overflow 0
		.amdhsa_workgroup_processor_mode 1
		.amdhsa_memory_ordered 1
		.amdhsa_forward_progress 0
		.amdhsa_round_robin_scheduling 0
		.amdhsa_exception_fp_ieee_invalid_op 0
		.amdhsa_exception_fp_denorm_src 0
		.amdhsa_exception_fp_ieee_div_zero 0
		.amdhsa_exception_fp_ieee_overflow 0
		.amdhsa_exception_fp_ieee_underflow 0
		.amdhsa_exception_fp_ieee_inexact 0
		.amdhsa_exception_int_div_zero 0
	.end_amdhsa_kernel
	.text
.Lfunc_end0:
	.size	fft_rtc_back_len2700_factors_3_10_10_3_3_wgs_90_tpt_90_halfLds_half_op_CI_CI_unitstride_sbrr_dirReg, .Lfunc_end0-fft_rtc_back_len2700_factors_3_10_10_3_3_wgs_90_tpt_90_halfLds_half_op_CI_CI_unitstride_sbrr_dirReg
                                        ; -- End function
	.section	.AMDGPU.csdata,"",@progbits
; Kernel info:
; codeLenInByte = 20276
; NumSgprs: 41
; NumVgprs: 112
; ScratchSize: 0
; MemoryBound: 0
; FloatMode: 240
; IeeeMode: 1
; LDSByteSize: 0 bytes/workgroup (compile time only)
; SGPRBlocks: 5
; VGPRBlocks: 13
; NumSGPRsForWavesPerEU: 41
; NumVGPRsForWavesPerEU: 112
; Occupancy: 12
; WaveLimiterHint : 1
; COMPUTE_PGM_RSRC2:SCRATCH_EN: 0
; COMPUTE_PGM_RSRC2:USER_SGPR: 2
; COMPUTE_PGM_RSRC2:TRAP_HANDLER: 0
; COMPUTE_PGM_RSRC2:TGID_X_EN: 1
; COMPUTE_PGM_RSRC2:TGID_Y_EN: 0
; COMPUTE_PGM_RSRC2:TGID_Z_EN: 0
; COMPUTE_PGM_RSRC2:TIDIG_COMP_CNT: 0
	.text
	.p2alignl 7, 3214868480
	.fill 96, 4, 3214868480
	.type	__hip_cuid_345e8aa2cee5616f,@object ; @__hip_cuid_345e8aa2cee5616f
	.section	.bss,"aw",@nobits
	.globl	__hip_cuid_345e8aa2cee5616f
__hip_cuid_345e8aa2cee5616f:
	.byte	0                               ; 0x0
	.size	__hip_cuid_345e8aa2cee5616f, 1

	.ident	"AMD clang version 19.0.0git (https://github.com/RadeonOpenCompute/llvm-project roc-6.4.0 25133 c7fe45cf4b819c5991fe208aaa96edf142730f1d)"
	.section	".note.GNU-stack","",@progbits
	.addrsig
	.addrsig_sym __hip_cuid_345e8aa2cee5616f
	.amdgpu_metadata
---
amdhsa.kernels:
  - .args:
      - .actual_access:  read_only
        .address_space:  global
        .offset:         0
        .size:           8
        .value_kind:     global_buffer
      - .offset:         8
        .size:           8
        .value_kind:     by_value
      - .actual_access:  read_only
        .address_space:  global
        .offset:         16
        .size:           8
        .value_kind:     global_buffer
      - .actual_access:  read_only
        .address_space:  global
        .offset:         24
        .size:           8
        .value_kind:     global_buffer
      - .actual_access:  read_only
        .address_space:  global
        .offset:         32
        .size:           8
        .value_kind:     global_buffer
      - .offset:         40
        .size:           8
        .value_kind:     by_value
      - .actual_access:  read_only
        .address_space:  global
        .offset:         48
        .size:           8
        .value_kind:     global_buffer
      - .actual_access:  read_only
        .address_space:  global
        .offset:         56
        .size:           8
        .value_kind:     global_buffer
      - .offset:         64
        .size:           4
        .value_kind:     by_value
      - .actual_access:  read_only
        .address_space:  global
        .offset:         72
        .size:           8
        .value_kind:     global_buffer
      - .actual_access:  read_only
        .address_space:  global
        .offset:         80
        .size:           8
        .value_kind:     global_buffer
      - .actual_access:  read_only
        .address_space:  global
        .offset:         88
        .size:           8
        .value_kind:     global_buffer
      - .actual_access:  write_only
        .address_space:  global
        .offset:         96
        .size:           8
        .value_kind:     global_buffer
    .group_segment_fixed_size: 0
    .kernarg_segment_align: 8
    .kernarg_segment_size: 104
    .language:       OpenCL C
    .language_version:
      - 2
      - 0
    .max_flat_workgroup_size: 90
    .name:           fft_rtc_back_len2700_factors_3_10_10_3_3_wgs_90_tpt_90_halfLds_half_op_CI_CI_unitstride_sbrr_dirReg
    .private_segment_fixed_size: 0
    .sgpr_count:     41
    .sgpr_spill_count: 0
    .symbol:         fft_rtc_back_len2700_factors_3_10_10_3_3_wgs_90_tpt_90_halfLds_half_op_CI_CI_unitstride_sbrr_dirReg.kd
    .uniform_work_group_size: 1
    .uses_dynamic_stack: false
    .vgpr_count:     112
    .vgpr_spill_count: 0
    .wavefront_size: 32
    .workgroup_processor_mode: 1
amdhsa.target:   amdgcn-amd-amdhsa--gfx1201
amdhsa.version:
  - 1
  - 2
...

	.end_amdgpu_metadata
